;; amdgpu-corpus repo=ROCm/rocFFT kind=compiled arch=gfx1030 opt=O3
	.text
	.amdgcn_target "amdgcn-amd-amdhsa--gfx1030"
	.amdhsa_code_object_version 6
	.protected	bluestein_single_back_len10752_dim1_half_op_CI_CI ; -- Begin function bluestein_single_back_len10752_dim1_half_op_CI_CI
	.globl	bluestein_single_back_len10752_dim1_half_op_CI_CI
	.p2align	8
	.type	bluestein_single_back_len10752_dim1_half_op_CI_CI,@function
bluestein_single_back_len10752_dim1_half_op_CI_CI: ; @bluestein_single_back_len10752_dim1_half_op_CI_CI
; %bb.0:
	s_load_dwordx4 s[8:11], s[4:5], 0x28
	s_mov_b32 s7, 0
	s_mov_b32 s1, exec_lo
	s_waitcnt lgkmcnt(0)
	v_cmpx_lt_u64_e64 s[6:7], s[8:9]
	s_cbranch_execz .LBB0_33
; %bb.1:
	s_clause 0x1
	s_load_dwordx4 s[0:3], s[4:5], 0x18
	s_load_dwordx2 s[18:19], s[4:5], 0x0
	v_lshlrev_b32_e32 v76, 2, v0
	v_or_b32_e32 v21, 0x200, v0
	v_mov_b32_e32 v36, s7
	v_mov_b32_e32 v35, s6
	v_or_b32_e32 v23, 0x400, v0
	v_or_b32_e32 v57, 0x600, v0
	v_lshlrev_b32_e32 v1, 2, v21
	v_or_b32_e32 v58, 0x800, v0
	s_load_dwordx2 s[24:25], s[4:5], 0x38
	v_lshlrev_b32_e32 v18, 2, v23
	v_lshlrev_b32_e32 v101, 2, v57
	v_mov_b32_e32 v22, 0
	v_lshlrev_b32_e32 v103, 2, v58
	v_or_b32_e32 v38, 0xa00, v0
	v_mov_b32_e32 v39, v22
	v_mov_b32_e32 v24, v22
	s_waitcnt lgkmcnt(0)
	s_load_dwordx4 s[12:15], s[0:1], 0x0
	v_add_co_u32 v74, s0, s18, v76
	v_add_co_ci_u32_e64 v75, null, s19, 0, s0
	s_clause 0x1
	global_load_dword v97, v76, s[18:19]
	global_load_dword v93, v1, s[18:19]
	v_add_co_u32 v1, vcc_lo, 0x2800, v74
	v_add_co_ci_u32_e32 v2, vcc_lo, 0, v75, vcc_lo
	v_add_co_u32 v33, vcc_lo, 0x5000, v74
	v_add_co_ci_u32_e32 v34, vcc_lo, 0, v75, vcc_lo
	;; [unrolled: 2-line block ×3, first 2 shown]
	v_add_co_u32 v7, vcc_lo, 0x3000, v74
	s_waitcnt lgkmcnt(0)
	v_mad_u64_u32 v[3:4], null, s14, v35, 0
	v_mad_u64_u32 v[5:6], null, s12, v0, 0
	v_add_co_ci_u32_e32 v8, vcc_lo, 0, v75, vcc_lo
	v_add_co_u32 v9, vcc_lo, 0x5800, v74
	s_clause 0x2
	global_load_dword v96, v[1:2], off offset:512
	global_load_dword v95, v[33:34], off offset:1024
	;; [unrolled: 1-line block ×3, first 2 shown]
	v_add_co_ci_u32_e32 v10, vcc_lo, 0, v75, vcc_lo
	v_mad_u64_u32 v[11:12], null, s15, v35, v[4:5]
	v_mad_u64_u32 v[14:15], null, s13, v0, v[6:7]
	v_add_co_u32 v12, vcc_lo, 0x8000, v74
	v_add_co_ci_u32_e32 v13, vcc_lo, 0, v75, vcc_lo
	v_mov_b32_e32 v4, v11
	s_mul_i32 s1, s13, 0xa80
	v_mov_b32_e32 v6, v14
	s_mul_hi_u32 s6, s12, 0xa80
	s_mul_i32 s0, s12, 0xa80
	v_lshlrev_b64 v[1:2], 2, v[3:4]
	s_add_i32 s1, s6, s1
	v_lshlrev_b64 v[3:4], 2, v[5:6]
	s_lshl_b64 s[6:7], s[0:1], 2
	s_mul_i32 s9, s13, 0xffffe280
	s_mul_hi_u32 s13, s12, 0xffffe280
	v_add_co_u32 v1, vcc_lo, s10, v1
	v_add_co_ci_u32_e32 v2, vcc_lo, s11, v2, vcc_lo
	s_sub_i32 s0, s13, s12
	v_add_co_u32 v1, vcc_lo, v1, v3
	v_add_co_ci_u32_e32 v2, vcc_lo, v2, v4, vcc_lo
	s_mul_i32 s8, s12, 0xffffe280
	v_add_co_u32 v3, vcc_lo, v1, s6
	v_add_co_ci_u32_e32 v4, vcc_lo, s7, v2, vcc_lo
	s_add_i32 s9, s0, s9
	v_add_co_u32 v5, vcc_lo, v3, s6
	v_add_co_ci_u32_e32 v6, vcc_lo, s7, v4, vcc_lo
	s_lshl_b64 s[0:1], s[8:9], 2
	v_add_co_u32 v14, vcc_lo, v5, s6
	v_add_co_ci_u32_e32 v15, vcc_lo, s7, v6, vcc_lo
	s_clause 0x2
	global_load_dword v92, v[7:8], off offset:512
	global_load_dword v91, v[9:10], off offset:1024
	;; [unrolled: 1-line block ×3, first 2 shown]
	v_add_co_u32 v16, vcc_lo, v14, s0
	v_add_co_ci_u32_e32 v17, vcc_lo, s1, v15, vcc_lo
	s_clause 0x1
	global_load_dword v13, v[1:2], off
	global_load_dword v19, v[3:4], off
	v_add_co_u32 v7, vcc_lo, v16, s6
	v_add_co_ci_u32_e32 v8, vcc_lo, s7, v17, vcc_lo
	v_lshlrev_b32_e32 v77, 2, v38
	v_add_co_u32 v9, vcc_lo, v7, s6
	v_add_co_ci_u32_e32 v10, vcc_lo, s7, v8, vcc_lo
	v_add_co_u32 v11, vcc_lo, v9, s6
	v_add_co_ci_u32_e32 v12, vcc_lo, s7, v10, vcc_lo
	;; [unrolled: 2-line block ×3, first 2 shown]
	s_clause 0x2
	global_load_dword v20, v[5:6], off
	global_load_dword v14, v[14:15], off
	;; [unrolled: 1-line block ×7, first 2 shown]
	v_add_co_u32 v1, vcc_lo, v1, s6
	v_add_co_ci_u32_e32 v2, vcc_lo, s7, v2, vcc_lo
	v_add_co_u32 v3, vcc_lo, 0x3800, v74
	v_add_co_ci_u32_e32 v4, vcc_lo, 0, v75, vcc_lo
	;; [unrolled: 2-line block ×4, first 2 shown]
	global_load_dword v89, v18, s[18:19]
	global_load_dword v18, v[1:2], off
	global_load_dword v88, v[3:4], off offset:512
	global_load_dword v25, v[5:6], off
	global_load_dword v87, v[7:8], off offset:1024
	v_add_co_u32 v1, vcc_lo, v5, s6
	v_add_co_ci_u32_e32 v2, vcc_lo, s7, v6, vcc_lo
	v_add_co_u32 v3, vcc_lo, 0x8800, v74
	v_add_co_ci_u32_e32 v4, vcc_lo, 0, v75, vcc_lo
	;; [unrolled: 2-line block ×4, first 2 shown]
	global_load_dword v26, v[1:2], off
	global_load_dword v86, v[3:4], off offset:1536
	global_load_dword v27, v[5:6], off
	global_load_dword v85, v101, s[18:19]
	global_load_dword v28, v[7:8], off
	v_add_co_u32 v1, vcc_lo, 0x4000, v74
	v_add_co_ci_u32_e32 v2, vcc_lo, 0, v75, vcc_lo
	v_add_co_u32 v3, vcc_lo, v7, s6
	v_add_co_ci_u32_e32 v4, vcc_lo, s7, v8, vcc_lo
	;; [unrolled: 2-line block ×5, first 2 shown]
	global_load_dword v84, v[1:2], off offset:512
	global_load_dword v29, v[3:4], off
	global_load_dword v83, v[5:6], off offset:1024
	global_load_dword v30, v[7:8], off
	global_load_dword v82, v[9:10], off offset:1536
	v_add_co_u32 v1, vcc_lo, v7, s0
	v_add_co_ci_u32_e32 v2, vcc_lo, s1, v8, vcc_lo
	v_add_co_u32 v3, vcc_lo, v1, s6
	v_add_co_ci_u32_e32 v4, vcc_lo, s7, v2, vcc_lo
	;; [unrolled: 2-line block ×4, first 2 shown]
	global_load_dword v9, v[1:2], off
	global_load_dword v81, v103, s[18:19]
	global_load_dword v10, v[3:4], off
	global_load_dword v80, v[5:6], off offset:512
	global_load_dword v36, v[7:8], off
	v_add_co_u32 v3, vcc_lo, 0x7000, v74
	v_add_co_ci_u32_e32 v4, vcc_lo, 0, v75, vcc_lo
	v_add_co_u32 v1, vcc_lo, v7, s6
	v_add_co_ci_u32_e32 v2, vcc_lo, s7, v8, vcc_lo
	;; [unrolled: 2-line block ×3, first 2 shown]
	global_load_dword v7, v[1:2], off
	s_clause 0x1
	global_load_dword v79, v[3:4], off offset:1024
	global_load_dword v78, v[5:6], off offset:1536
	s_load_dwordx4 s[20:23], s[2:3], 0x0
	v_cmp_gt_u64_e32 vcc_lo, 0xa80, v[38:39]
	s_waitcnt vmcnt(31)
	v_lshrrev_b32_e32 v3, 16, v13
	v_mul_f16_sdwa v4, v97, v13 dst_sel:DWORD dst_unused:UNUSED_PAD src0_sel:WORD_1 src1_sel:DWORD
	s_waitcnt vmcnt(30)
	v_lshrrev_b32_e32 v6, 16, v19
	v_mul_f16_sdwa v8, v96, v19 dst_sel:DWORD dst_unused:UNUSED_PAD src0_sel:WORD_1 src1_sel:DWORD
	v_mul_f16_sdwa v5, v97, v3 dst_sel:DWORD dst_unused:UNUSED_PAD src0_sel:WORD_1 src1_sel:DWORD
	v_fma_f16 v3, v97, v3, -v4
	v_mul_f16_sdwa v4, v96, v6 dst_sel:DWORD dst_unused:UNUSED_PAD src0_sel:WORD_1 src1_sel:DWORD
	v_fma_f16 v6, v96, v6, -v8
	v_fmac_f16_e32 v5, v97, v13
	v_fmac_f16_e32 v4, v96, v19
	s_waitcnt vmcnt(29)
	v_lshrrev_b32_e32 v13, 16, v20
	v_mul_f16_sdwa v8, v95, v20 dst_sel:DWORD dst_unused:UNUSED_PAD src0_sel:WORD_1 src1_sel:DWORD
	v_pack_b32_f16 v3, v5, v3
	s_waitcnt vmcnt(28)
	v_lshrrev_b32_e32 v19, 16, v14
	v_pack_b32_f16 v4, v4, v6
	v_mul_f16_sdwa v5, v95, v13 dst_sel:DWORD dst_unused:UNUSED_PAD src0_sel:WORD_1 src1_sel:DWORD
	v_fma_f16 v8, v95, v13, -v8
	v_mul_f16_sdwa v13, v94, v14 dst_sel:DWORD dst_unused:UNUSED_PAD src0_sel:WORD_1 src1_sel:DWORD
	v_mul_f16_sdwa v6, v94, v19 dst_sel:DWORD dst_unused:UNUSED_PAD src0_sel:WORD_1 src1_sel:DWORD
	s_waitcnt vmcnt(25)
	v_mul_f16_sdwa v37, v91, v17 dst_sel:DWORD dst_unused:UNUSED_PAD src0_sel:WORD_1 src1_sel:DWORD
	v_fmac_f16_e32 v5, v95, v20
	v_lshrrev_b32_e32 v20, 16, v15
	v_fma_f16 v13, v94, v19, -v13
	v_mul_f16_sdwa v19, v93, v15 dst_sel:DWORD dst_unused:UNUSED_PAD src0_sel:WORD_1 src1_sel:DWORD
	v_fmac_f16_e32 v6, v94, v14
	v_pack_b32_f16 v5, v5, v8
	v_mul_f16_sdwa v8, v93, v20 dst_sel:DWORD dst_unused:UNUSED_PAD src0_sel:WORD_1 src1_sel:DWORD
	v_lshrrev_b32_e32 v14, 16, v16
	v_fma_f16 v19, v93, v20, -v19
	v_mul_f16_sdwa v20, v92, v16 dst_sel:DWORD dst_unused:UNUSED_PAD src0_sel:WORD_1 src1_sel:DWORD
	v_pack_b32_f16 v6, v6, v13
	v_fmac_f16_e32 v8, v93, v15
	v_mul_f16_sdwa v13, v92, v14 dst_sel:DWORD dst_unused:UNUSED_PAD src0_sel:WORD_1 src1_sel:DWORD
	v_lshrrev_b32_e32 v15, 16, v17
	v_fma_f16 v14, v92, v14, -v20
	s_waitcnt vmcnt(24)
	v_mul_f16_sdwa v20, v90, v11 dst_sel:DWORD dst_unused:UNUSED_PAD src0_sel:WORD_1 src1_sel:DWORD
	v_pack_b32_f16 v8, v8, v19
	v_fmac_f16_e32 v13, v92, v16
	v_mul_f16_sdwa v16, v91, v15 dst_sel:DWORD dst_unused:UNUSED_PAD src0_sel:WORD_1 src1_sel:DWORD
	v_lshrrev_b32_e32 v19, 16, v11
	v_fma_f16 v15, v91, v15, -v37
	ds_write2st64_b32 v76, v3, v8 offset1:8
	v_pack_b32_f16 v3, v13, v14
	v_fmac_f16_e32 v16, v91, v17
	v_mul_f16_sdwa v8, v90, v19 dst_sel:DWORD dst_unused:UNUSED_PAD src0_sel:WORD_1 src1_sel:DWORD
	s_waitcnt vmcnt(23)
	v_lshrrev_b32_e32 v13, 16, v12
	s_waitcnt vmcnt(22)
	v_mul_f16_sdwa v14, v89, v12 dst_sel:DWORD dst_unused:UNUSED_PAD src0_sel:WORD_1 src1_sel:DWORD
	v_fma_f16 v17, v90, v19, -v20
	v_pack_b32_f16 v15, v16, v15
	v_fmac_f16_e32 v8, v90, v11
	v_mul_f16_sdwa v11, v89, v13 dst_sel:DWORD dst_unused:UNUSED_PAD src0_sel:WORD_1 src1_sel:DWORD
	v_fma_f16 v13, v89, v13, -v14
	s_waitcnt vmcnt(21)
	v_lshrrev_b32_e32 v14, 16, v18
	s_waitcnt vmcnt(20)
	v_mul_f16_sdwa v16, v88, v18 dst_sel:DWORD dst_unused:UNUSED_PAD src0_sel:WORD_1 src1_sel:DWORD
	ds_write2st64_b32 v76, v5, v15 offset0:84 offset1:92
	v_pack_b32_f16 v5, v8, v17
	v_fmac_f16_e32 v11, v89, v12
	v_mul_f16_sdwa v8, v88, v14 dst_sel:DWORD dst_unused:UNUSED_PAD src0_sel:WORD_1 src1_sel:DWORD
	s_waitcnt vmcnt(19)
	v_lshrrev_b32_e32 v12, 16, v25
	v_fma_f16 v14, v88, v14, -v16
	s_waitcnt vmcnt(18)
	v_mul_f16_sdwa v15, v87, v25 dst_sel:DWORD dst_unused:UNUSED_PAD src0_sel:WORD_1 src1_sel:DWORD
	v_pack_b32_f16 v11, v11, v13
	v_fmac_f16_e32 v8, v88, v18
	v_mul_f16_sdwa v13, v87, v12 dst_sel:DWORD dst_unused:UNUSED_PAD src0_sel:WORD_1 src1_sel:DWORD
	s_waitcnt vmcnt(17)
	v_lshrrev_b32_e32 v16, 16, v26
	s_waitcnt vmcnt(16)
	v_mul_f16_sdwa v17, v86, v26 dst_sel:DWORD dst_unused:UNUSED_PAD src0_sel:WORD_1 src1_sel:DWORD
	v_fma_f16 v12, v87, v12, -v15
	v_pack_b32_f16 v8, v8, v14
	v_fmac_f16_e32 v13, v87, v25
	v_mul_f16_sdwa v14, v86, v16 dst_sel:DWORD dst_unused:UNUSED_PAD src0_sel:WORD_1 src1_sel:DWORD
	v_fma_f16 v15, v86, v16, -v17
	s_waitcnt vmcnt(15)
	v_lshrrev_b32_e32 v16, 16, v27
	s_waitcnt vmcnt(14)
	v_mul_f16_sdwa v17, v85, v27 dst_sel:DWORD dst_unused:UNUSED_PAD src0_sel:WORD_1 src1_sel:DWORD
	ds_write2st64_b32 v76, v3, v8 offset0:50 offset1:58
	v_pack_b32_f16 v3, v13, v12
	v_fmac_f16_e32 v14, v86, v26
	v_mul_f16_sdwa v8, v85, v16 dst_sel:DWORD dst_unused:UNUSED_PAD src0_sel:WORD_1 src1_sel:DWORD
	s_waitcnt vmcnt(13)
	v_lshrrev_b32_e32 v12, 16, v28
	s_waitcnt vmcnt(12)
	v_mul_f16_sdwa v13, v84, v28 dst_sel:DWORD dst_unused:UNUSED_PAD src0_sel:WORD_1 src1_sel:DWORD
	v_fma_f16 v16, v85, v16, -v17
	v_pack_b32_f16 v14, v14, v15
	v_fmac_f16_e32 v8, v85, v27
	v_mul_f16_sdwa v15, v84, v12 dst_sel:DWORD dst_unused:UNUSED_PAD src0_sel:WORD_1 src1_sel:DWORD
	v_fma_f16 v12, v84, v12, -v13
	s_waitcnt vmcnt(11)
	v_lshrrev_b32_e32 v13, 16, v29
	s_waitcnt vmcnt(10)
	v_mul_f16_sdwa v17, v83, v29 dst_sel:DWORD dst_unused:UNUSED_PAD src0_sel:WORD_1 src1_sel:DWORD
	ds_write2st64_b32 v76, v5, v14 offset0:134 offset1:142
	v_pack_b32_f16 v5, v8, v16
	v_fmac_f16_e32 v15, v84, v28
	v_mul_f16_sdwa v8, v83, v13 dst_sel:DWORD dst_unused:UNUSED_PAD src0_sel:WORD_1 src1_sel:DWORD
	v_fma_f16 v13, v83, v13, -v17
	s_waitcnt vmcnt(9)
	v_lshrrev_b32_e32 v14, 16, v30
	ds_write2st64_b32 v76, v11, v5 offset0:16 offset1:24
	v_pack_b32_f16 v5, v15, v12
	v_fmac_f16_e32 v8, v83, v29
	s_waitcnt vmcnt(7)
	v_lshrrev_b32_e32 v12, 16, v9
	s_waitcnt vmcnt(6)
	v_mul_f16_sdwa v15, v81, v9 dst_sel:DWORD dst_unused:UNUSED_PAD src0_sel:WORD_1 src1_sel:DWORD
	v_mul_f16_sdwa v16, v82, v30 dst_sel:DWORD dst_unused:UNUSED_PAD src0_sel:WORD_1 src1_sel:DWORD
	;; [unrolled: 1-line block ×3, first 2 shown]
	v_pack_b32_f16 v8, v8, v13
	v_mul_f16_sdwa v13, v81, v12 dst_sel:DWORD dst_unused:UNUSED_PAD src0_sel:WORD_1 src1_sel:DWORD
	v_fma_f16 v12, v81, v12, -v15
	s_waitcnt vmcnt(5)
	v_lshrrev_b32_e32 v15, 16, v10
	v_fma_f16 v14, v82, v14, -v16
	s_waitcnt vmcnt(4)
	v_mul_f16_sdwa v16, v80, v10 dst_sel:DWORD dst_unused:UNUSED_PAD src0_sel:WORD_1 src1_sel:DWORD
	ds_write2st64_b32 v76, v3, v8 offset0:100 offset1:108
	s_waitcnt vmcnt(3)
	v_lshrrev_b32_e32 v3, 16, v36
	v_fmac_f16_e32 v13, v81, v9
	s_waitcnt vmcnt(2)
	v_lshrrev_b32_e32 v9, 16, v7
	v_mul_f16_sdwa v8, v80, v15 dst_sel:DWORD dst_unused:UNUSED_PAD src0_sel:WORD_1 src1_sel:DWORD
	v_fma_f16 v15, v80, v15, -v16
	s_waitcnt vmcnt(1)
	v_mul_f16_sdwa v16, v79, v36 dst_sel:DWORD dst_unused:UNUSED_PAD src0_sel:WORD_1 src1_sel:DWORD
	v_mul_f16_sdwa v17, v79, v3 dst_sel:DWORD dst_unused:UNUSED_PAD src0_sel:WORD_1 src1_sel:DWORD
	s_waitcnt vmcnt(0)
	v_mul_f16_sdwa v18, v78, v7 dst_sel:DWORD dst_unused:UNUSED_PAD src0_sel:WORD_1 src1_sel:DWORD
	v_mul_f16_sdwa v19, v78, v9 dst_sel:DWORD dst_unused:UNUSED_PAD src0_sel:WORD_1 src1_sel:DWORD
	v_fmac_f16_e32 v8, v80, v10
	v_fma_f16 v3, v79, v3, -v16
	v_fmac_f16_e32 v17, v79, v36
	v_fmac_f16_e32 v11, v82, v30
	v_fma_f16 v9, v78, v9, -v18
	v_fmac_f16_e32 v19, v78, v7
	v_pack_b32_f16 v10, v13, v12
	v_pack_b32_f16 v8, v8, v15
	v_pack_b32_f16 v3, v17, v3
	v_pack_b32_f16 v7, v11, v14
	v_pack_b32_f16 v9, v19, v9
	ds_write2st64_b32 v76, v10, v4 offset0:32 offset1:42
	ds_write2st64_b32 v76, v5, v8 offset0:66 offset1:74
	;; [unrolled: 1-line block ×4, first 2 shown]
	s_and_saveexec_b32 s2, vcc_lo
	s_cbranch_execz .LBB0_3
; %bb.2:
	v_add_co_u32 v1, s0, v1, s0
	v_add_co_ci_u32_e64 v2, s0, s1, v2, s0
	global_load_dword v7, v77, s[18:19]
	v_add_co_u32 v3, s0, v1, s6
	v_add_co_ci_u32_e64 v4, s0, s7, v2, s0
	global_load_dword v8, v[1:2], off
	v_add_co_u32 v5, s0, v3, s6
	v_add_co_ci_u32_e64 v6, s0, s7, v4, s0
	v_add_co_u32 v1, s0, v5, s6
	v_add_co_ci_u32_e64 v2, s0, s7, v6, s0
	global_load_dword v3, v[3:4], off
	global_load_dword v4, v[33:34], off offset:512
	global_load_dword v5, v[5:6], off
	global_load_dword v6, v[1:2], off
	v_add_co_u32 v1, s0, 0xa000, v74
	v_add_co_ci_u32_e64 v2, s0, 0, v75, s0
	s_clause 0x1
	global_load_dword v9, v[31:32], off offset:1024
	global_load_dword v1, v[1:2], off offset:1536
	s_waitcnt vmcnt(6)
	v_lshrrev_b32_e32 v2, 16, v8
	v_mul_f16_sdwa v10, v7, v8 dst_sel:DWORD dst_unused:UNUSED_PAD src0_sel:WORD_1 src1_sel:DWORD
	v_mul_f16_sdwa v11, v7, v2 dst_sel:DWORD dst_unused:UNUSED_PAD src0_sel:WORD_1 src1_sel:DWORD
	v_fma_f16 v2, v7, v2, -v10
	s_waitcnt vmcnt(5)
	v_lshrrev_b32_e32 v10, 16, v3
	s_waitcnt vmcnt(4)
	v_mul_f16_sdwa v12, v4, v3 dst_sel:DWORD dst_unused:UNUSED_PAD src0_sel:WORD_1 src1_sel:DWORD
	v_fmac_f16_e32 v11, v7, v8
	s_waitcnt vmcnt(3)
	v_lshrrev_b32_e32 v7, 16, v5
	s_waitcnt vmcnt(2)
	v_lshrrev_b32_e32 v8, 16, v6
	v_mul_f16_sdwa v13, v4, v10 dst_sel:DWORD dst_unused:UNUSED_PAD src0_sel:WORD_1 src1_sel:DWORD
	v_fma_f16 v10, v4, v10, -v12
	v_pack_b32_f16 v2, v11, v2
	s_waitcnt vmcnt(1)
	v_mul_f16_sdwa v12, v9, v5 dst_sel:DWORD dst_unused:UNUSED_PAD src0_sel:WORD_1 src1_sel:DWORD
	v_mul_f16_sdwa v14, v9, v7 dst_sel:DWORD dst_unused:UNUSED_PAD src0_sel:WORD_1 src1_sel:DWORD
	s_waitcnt vmcnt(0)
	v_mul_f16_sdwa v15, v1, v8 dst_sel:DWORD dst_unused:UNUSED_PAD src0_sel:WORD_1 src1_sel:DWORD
	v_mul_f16_sdwa v16, v1, v6 dst_sel:DWORD dst_unused:UNUSED_PAD src0_sel:WORD_1 src1_sel:DWORD
	v_fmac_f16_e32 v13, v4, v3
	v_fma_f16 v3, v9, v7, -v12
	v_fmac_f16_e32 v14, v9, v5
	v_fmac_f16_e32 v15, v1, v6
	v_fma_f16 v1, v1, v8, -v16
	v_pack_b32_f16 v4, v13, v10
	v_pack_b32_f16 v3, v14, v3
	;; [unrolled: 1-line block ×3, first 2 shown]
	ds_write2st64_b32 v76, v2, v4 offset0:40 offset1:82
	ds_write2st64_b32 v76, v3, v1 offset0:124 offset1:166
.LBB0_3:
	s_or_b32 exec_lo, exec_lo, s2
	s_waitcnt lgkmcnt(0)
	s_barrier
	buffer_gl0_inv
	ds_read2st64_b32 v[8:9], v76 offset1:8
	ds_read2st64_b32 v[10:11], v76 offset0:32 offset1:42
	ds_read2st64_b32 v[29:30], v76 offset0:84 offset1:92
	;; [unrolled: 1-line block ×9, first 2 shown]
                                        ; implicit-def: $vgpr12
                                        ; implicit-def: $vgpr14
	s_and_saveexec_b32 s0, vcc_lo
	s_cbranch_execz .LBB0_5
; %bb.4:
	ds_read2st64_b32 v[12:13], v76 offset0:40 offset1:82
	ds_read2st64_b32 v[14:15], v76 offset0:124 offset1:166
.LBB0_5:
	s_or_b32 exec_lo, exec_lo, s0
	s_waitcnt lgkmcnt(7)
	v_pk_add_f16 v20, v8, v29 neg_lo:[0,1] neg_hi:[0,1]
	s_waitcnt lgkmcnt(6)
	v_pk_add_f16 v17, v11, v17 neg_lo:[0,1] neg_hi:[0,1]
	;; [unrolled: 2-line block ×3, first 2 shown]
	v_pk_add_f16 v28, v7, v28 neg_lo:[0,1] neg_hi:[0,1]
	v_pk_add_f16 v29, v9, v30 neg_lo:[0,1] neg_hi:[0,1]
	v_lshrrev_b32_e32 v3, 16, v20
	v_pk_add_f16 v16, v10, v16 neg_lo:[0,1] neg_hi:[0,1]
	s_waitcnt lgkmcnt(0)
	v_pk_add_f16 v19, v5, v19 neg_lo:[0,1] neg_hi:[0,1]
	v_pk_add_f16 v30, v6, v27 neg_lo:[0,1] neg_hi:[0,1]
	v_lshrrev_b32_e32 v25, 16, v29
	v_add_f16_e32 v45, v3, v17
	v_pk_fma_f16 v62, v10, 2.0, v16 op_sel_hi:[1,0,1] neg_lo:[0,0,1] neg_hi:[0,0,1]
	v_pk_add_f16 v14, v12, v14 neg_lo:[0,1] neg_hi:[0,1]
	v_pk_add_f16 v10, v13, v15 neg_lo:[0,1] neg_hi:[0,1]
	v_add_f16_e32 v48, v25, v30
	v_fma_f16 v50, v3, 2.0, -v45
	v_lshrrev_b32_e32 v3, 16, v42
	v_pk_fma_f16 v12, v12, 2.0, v14 op_sel_hi:[1,0,1] neg_lo:[0,0,1] neg_hi:[0,0,1]
	v_pk_fma_f16 v13, v13, 2.0, v10 op_sel_hi:[1,0,1] neg_lo:[0,0,1] neg_hi:[0,0,1]
	v_pk_add_f16 v46, v2, v26 neg_lo:[0,1] neg_hi:[0,1]
	v_sub_f16_sdwa v43, v20, v17 dst_sel:DWORD dst_unused:UNUSED_PAD src0_sel:DWORD src1_sel:WORD_1
	v_add_f16_e32 v53, v3, v28
	v_fma_f16 v52, v25, 2.0, -v48
	v_sub_f16_sdwa v25, v16, v19 dst_sel:DWORD dst_unused:UNUSED_PAD src0_sel:DWORD src1_sel:WORD_1
	v_lshrrev_b32_e32 v15, 16, v14
	v_pk_fma_f16 v8, v8, 2.0, v20 op_sel_hi:[1,0,1] neg_lo:[0,0,1] neg_hi:[0,0,1]
	v_fma_f16 v59, v3, 2.0, -v53
	v_pk_fma_f16 v3, v5, 2.0, v19 op_sel_hi:[1,0,1] neg_lo:[0,0,1] neg_hi:[0,0,1]
	v_lshrrev_b32_e32 v5, 16, v16
	v_pk_fma_f16 v11, v11, 2.0, v17 op_sel_hi:[1,0,1] neg_lo:[0,0,1] neg_hi:[0,0,1]
	v_pk_fma_f16 v6, v6, 2.0, v30 op_sel_hi:[1,0,1] neg_lo:[0,0,1] neg_hi:[0,0,1]
	v_pk_add_f16 v18, v4, v18 neg_lo:[0,1] neg_hi:[0,1]
	v_lshrrev_b32_e32 v26, 16, v46
	v_add_f16_e32 v37, v5, v19
	v_pk_add_f16 v19, v12, v13 neg_lo:[0,1] neg_hi:[0,1]
	v_sub_f16_sdwa v44, v29, v30 dst_sel:DWORD dst_unused:UNUSED_PAD src0_sel:DWORD src1_sel:WORD_1
	v_fma_f16 v47, v20, 2.0, -v43
	v_sub_f16_sdwa v27, v14, v10 dst_sel:DWORD dst_unused:UNUSED_PAD src0_sel:DWORD src1_sel:WORD_1
	v_fma_f16 v41, v5, 2.0, -v37
	v_pk_fma_f16 v5, v9, 2.0, v29 op_sel_hi:[1,0,1] neg_lo:[0,0,1] neg_hi:[0,0,1]
	v_add_f16_e32 v39, v10, v15
	v_pk_add_f16 v10, v8, v11 neg_lo:[0,1] neg_hi:[0,1]
	v_pk_fma_f16 v17, v12, 2.0, v19 op_sel_hi:[1,0,1] neg_lo:[0,0,1] neg_hi:[0,0,1]
	v_pk_fma_f16 v1, v1, 2.0, v42 op_sel_hi:[1,0,1] neg_lo:[0,0,1] neg_hi:[0,0,1]
	v_pk_add_f16 v12, v5, v6 neg_lo:[0,1] neg_hi:[0,1]
	v_pk_fma_f16 v6, v7, 2.0, v28 op_sel_hi:[1,0,1] neg_lo:[0,0,1] neg_hi:[0,0,1]
	v_sub_f16_sdwa v51, v42, v28 dst_sel:DWORD dst_unused:UNUSED_PAD src0_sel:DWORD src1_sel:WORD_1
	v_sub_f16_sdwa v55, v46, v18 dst_sel:DWORD dst_unused:UNUSED_PAD src0_sel:DWORD src1_sel:WORD_1
	v_add_f16_e32 v56, v26, v18
	v_pk_fma_f16 v2, v2, 2.0, v46 op_sel_hi:[1,0,1] neg_lo:[0,0,1] neg_hi:[0,0,1]
	v_pk_fma_f16 v4, v4, 2.0, v18 op_sel_hi:[1,0,1] neg_lo:[0,0,1] neg_hi:[0,0,1]
	v_fma_f16 v49, v29, 2.0, -v44
	v_pk_add_f16 v3, v62, v3 neg_lo:[0,1] neg_hi:[0,1]
	v_lshlrev_b32_e32 v102, 4, v0
	v_pk_fma_f16 v8, v8, 2.0, v10 op_sel_hi:[1,0,1] neg_lo:[0,0,1] neg_hi:[0,0,1]
	v_pack_b32_f16 v11, v43, v45
	v_pack_b32_f16 v9, v47, v50
	v_pk_add_f16 v7, v1, v6 neg_lo:[0,1] neg_hi:[0,1]
	v_fma_f16 v54, v42, 2.0, -v51
	v_fma_f16 v60, v46, 2.0, -v55
	;; [unrolled: 1-line block ×3, first 2 shown]
	v_pack_b32_f16 v13, v44, v48
	v_pk_add_f16 v44, v2, v4 neg_lo:[0,1] neg_hi:[0,1]
	v_fma_f16 v26, v16, 2.0, -v25
	v_fma_f16 v36, v14, 2.0, -v27
	v_fma_f16 v40, v15, 2.0, -v39
	s_barrier
	buffer_gl0_inv
	ds_write_b128 v102, v[8:11]
	v_lshlrev_b32_e32 v98, 4, v21
	v_pk_fma_f16 v10, v5, 2.0, v12 op_sel_hi:[1,0,1] neg_lo:[0,0,1] neg_hi:[0,0,1]
	v_pack_b32_f16 v11, v49, v52
	v_lshlrev_b32_e32 v104, 4, v23
	v_pk_fma_f16 v5, v1, 2.0, v7 op_sel_hi:[1,0,1] neg_lo:[0,0,1] neg_hi:[0,0,1]
	v_lshlrev_b32_e32 v106, 4, v57
	v_lshlrev_b32_e32 v107, 4, v58
	v_pk_fma_f16 v1, v62, 2.0, v3 op_sel_hi:[1,0,1] neg_lo:[0,0,1] neg_hi:[0,0,1]
	v_lshlrev_b32_e32 v105, 4, v38
	v_pack_b32_f16 v8, v51, v53
	v_pack_b32_f16 v6, v54, v59
	v_pk_fma_f16 v42, v2, 2.0, v44 op_sel_hi:[1,0,1] neg_lo:[0,0,1] neg_hi:[0,0,1]
	v_pack_b32_f16 v45, v55, v56
	v_pack_b32_f16 v43, v60, v61
	;; [unrolled: 1-line block ×4, first 2 shown]
	ds_write_b128 v98, v[10:13]
	ds_write_b128 v104, v[5:8]
	;; [unrolled: 1-line block ×4, first 2 shown]
	s_and_saveexec_b32 s0, vcc_lo
	s_cbranch_execz .LBB0_7
; %bb.6:
	v_perm_b32 v20, v39, v27, 0x5040100
	v_perm_b32 v18, v40, v36, 0x5040100
	ds_write_b128 v105, v[17:20]
.LBB0_7:
	s_or_b32 exec_lo, exec_lo, s0
	s_waitcnt lgkmcnt(0)
	s_barrier
	buffer_gl0_inv
	ds_read_b32 v54, v76 offset:2688
	ds_read_b32 v53, v76 offset:5376
	;; [unrolled: 1-line block ×14, first 2 shown]
	ds_read_b32 v2, v76
	ds_read_b32 v20, v76 offset:40320
	s_load_dwordx2 s[4:5], s[4:5], 0x8
	v_cmp_gt_u64_e64 s0, 0x2a0, v[21:22]
	v_lshrrev_b32_e32 v4, 16, v1
                                        ; implicit-def: $vgpr22
                                        ; implicit-def: $vgpr64
                                        ; implicit-def: $vgpr55
                                        ; implicit-def: $vgpr65
                                        ; implicit-def: $vgpr56
                                        ; implicit-def: $vgpr66
                                        ; implicit-def: $vgpr59
                                        ; implicit-def: $vgpr67
                                        ; implicit-def: $vgpr60
                                        ; implicit-def: $vgpr68
                                        ; implicit-def: $vgpr61
                                        ; implicit-def: $vgpr69
                                        ; implicit-def: $vgpr62
                                        ; implicit-def: $vgpr70
                                        ; implicit-def: $vgpr63
                                        ; implicit-def: $vgpr71
	s_and_saveexec_b32 s1, s0
	s_cbranch_execz .LBB0_9
; %bb.8:
	ds_read_b32 v1, v76 offset:2048
	ds_read_b32 v26, v76 offset:4736
	;; [unrolled: 1-line block ×16, first 2 shown]
	s_waitcnt lgkmcnt(0)
	v_lshrrev_b32_e32 v4, 16, v1
	v_lshrrev_b32_e32 v41, 16, v26
	;; [unrolled: 1-line block ×13, first 2 shown]
.LBB0_9:
	s_or_b32 exec_lo, exec_lo, s1
	v_and_b32_e32 v99, 3, v0
	s_waitcnt lgkmcnt(0)
	v_lshrrev_b32_e32 v73, 16, v54
	v_lshrrev_b32_e32 v100, 16, v53
	;; [unrolled: 1-line block ×4, first 2 shown]
	v_mad_u64_u32 v[28:29], null, v99, 60, s[4:5]
	v_lshrrev_b32_e32 v111, 16, v49
	v_lshrrev_b32_e32 v112, 16, v48
	;; [unrolled: 1-line block ×6, first 2 shown]
	s_clause 0x3
	global_load_dwordx4 v[13:16], v[28:29], off
	global_load_dwordx4 v[9:12], v[28:29], off offset:16
	global_load_dwordx4 v[5:8], v[28:29], off offset:32
	global_load_dwordx3 v[28:30], v[28:29], off offset:48
	v_lshrrev_b32_e32 v118, 16, v42
	v_lshrrev_b32_e32 v119, 16, v18
	;; [unrolled: 1-line block ×9, first 2 shown]
	s_waitcnt vmcnt(0)
	s_barrier
	buffer_gl0_inv
	v_mul_f16_sdwa v124, v73, v13 dst_sel:DWORD dst_unused:UNUSED_PAD src0_sel:DWORD src1_sel:WORD_1
	v_mul_f16_sdwa v127, v54, v13 dst_sel:DWORD dst_unused:UNUSED_PAD src0_sel:DWORD src1_sel:WORD_1
	;; [unrolled: 1-line block ×47, first 2 shown]
	v_fma_f16 v54, v54, v13, -v124
	v_fmac_f16_e32 v127, v73, v13
	v_fma_f16 v53, v53, v14, -v128
	v_fmac_f16_e32 v131, v100, v14
	v_fmac_f16_e32 v133, v108, v15
	v_fma_f16 v51, v51, v16, -v134
	v_fmac_f16_e32 v135, v109, v16
	v_fma_f16 v50, v50, v9, -v136
	v_fma_f16 v49, v49, v10, -v138
	v_fmac_f16_e32 v139, v111, v10
	v_fma_f16 v48, v48, v11, -v140
	v_fmac_f16_e32 v141, v112, v11
	;; [unrolled: 2-line block ×5, first 2 shown]
	v_fmac_f16_e32 v149, v116, v7
	v_fma_f16 v43, v43, v8, -v150
	v_fmac_f16_e32 v151, v117, v8
	v_fma_f16 v42, v42, v28, -v152
	v_fma_f16 v18, v18, v29, -v154
	v_fmac_f16_e32 v155, v119, v29
	v_fma_f16 v20, v20, v30, -v156
	v_fmac_f16_e32 v157, v122, v30
	v_mul_f16_sdwa v125, v120, v16 dst_sel:DWORD dst_unused:UNUSED_PAD src0_sel:DWORD src1_sel:WORD_1
	v_mul_f16_sdwa v126, v121, v10 dst_sel:DWORD dst_unused:UNUSED_PAD src0_sel:DWORD src1_sel:WORD_1
	;; [unrolled: 1-line block ×13, first 2 shown]
	v_fma_f16 v52, v52, v15, -v132
	v_fmac_f16_e32 v137, v110, v9
	v_fma_f16 v44, v44, v7, -v148
	v_fmac_f16_e32 v153, v118, v28
	;; [unrolled: 2-line block ×4, first 2 shown]
	v_fmac_f16_e32 v129, v120, v16
	v_fmac_f16_e32 v165, v40, v9
	;; [unrolled: 1-line block ×4, first 2 shown]
	v_fma_f16 v37, v63, v12, -v168
	v_fma_f16 v39, v62, v5, -v170
	;; [unrolled: 1-line block ×5, first 2 shown]
	v_fmac_f16_e32 v177, v67, v8
	v_fmac_f16_e32 v179, v66, v28
	;; [unrolled: 1-line block ×4, first 2 shown]
	v_sub_f16_e32 v47, v2, v47
	v_sub_f16_e32 v60, v72, v143
	;; [unrolled: 1-line block ×14, first 2 shown]
	v_fma_f16 v17, v17, v16, -v125
	v_fma_f16 v19, v19, v10, -v126
	v_fmac_f16_e32 v161, v123, v14
	v_fma_f16 v36, v36, v9, -v164
	v_fma_f16 v27, v27, v11, -v166
	v_fmac_f16_e32 v169, v71, v12
	v_fmac_f16_e32 v173, v69, v6
	;; [unrolled: 1-line block ×3, first 2 shown]
	v_fma_f16 v59, v59, v8, -v176
	v_fma_f16 v56, v56, v28, -v178
	v_fma_f16 v55, v55, v29, -v180
	v_fma_f16 v22, v22, v30, -v182
	v_sub_f16_e32 v65, v137, v153
	v_sub_f16_e32 v44, v52, v44
	;; [unrolled: 1-line block ×10, first 2 shown]
	v_fma_f16 v2, v2, 2.0, -v47
	v_fma_f16 v72, v72, 2.0, -v60
	;; [unrolled: 1-line block ×13, first 2 shown]
	v_add_f16_e32 v43, v60, v43
	v_add_f16_e32 v18, v62, v18
	;; [unrolled: 1-line block ×4, first 2 shown]
	v_fmac_f16_e32 v171, v70, v5
	v_sub_f16_e32 v68, v4, v169
	v_sub_f16_e32 v59, v17, v59
	;; [unrolled: 1-line block ×7, first 2 shown]
	v_fma_f16 v113, v127, 2.0, -v64
	v_fma_f16 v114, v137, 2.0, -v65
	;; [unrolled: 1-line block ×3, first 2 shown]
	v_sub_f16_e32 v61, v47, v61
	v_sub_f16_e32 v63, v45, v63
	;; [unrolled: 1-line block ×4, first 2 shown]
	v_fma_f16 v117, v129, 2.0, -v69
	v_fma_f16 v119, v130, 2.0, -v71
	;; [unrolled: 1-line block ×4, first 2 shown]
	v_sub_f16_e32 v69, v37, v69
	v_sub_f16_e32 v71, v40, v71
	;; [unrolled: 1-line block ×6, first 2 shown]
	v_fma_f16 v60, v60, 2.0, -v43
	v_sub_f16_e32 v49, v53, v49
	v_sub_f16_e32 v112, v111, v112
	v_fma_f16 v62, v62, 2.0, -v18
	v_sub_f16_e32 v50, v54, v50
	v_fma_f16 v64, v64, 2.0, -v42
	;; [unrolled: 2-line block ×3, first 2 shown]
	v_fmamk_f16 v125, v18, 0x39a8, v43
	v_fmamk_f16 v127, v20, 0x39a8, v42
	v_sub_f16_e32 v73, v159, v171
	v_fma_f16 v1, v1, 2.0, -v37
	v_fma_f16 v4, v4, 2.0, -v68
	;; [unrolled: 1-line block ×10, first 2 shown]
	v_add_f16_e32 v59, v68, v59
	v_add_f16_e32 v55, v70, v55
	;; [unrolled: 1-line block ×3, first 2 shown]
	v_fma_f16 v47, v47, 2.0, -v61
	v_fma_f16 v45, v45, 2.0, -v63
	v_sub_f16_e32 v114, v113, v114
	v_fma_f16 v46, v46, 2.0, -v65
	v_sub_f16_e32 v48, v52, v48
	v_fma_f16 v44, v44, 2.0, -v67
	v_fmamk_f16 v124, v63, 0x39a8, v61
	v_fmamk_f16 v126, v67, 0x39a8, v65
	v_fma_f16 v39, v39, 2.0, -v100
	v_fma_f16 v41, v41, 2.0, -v109
	v_fmamk_f16 v128, v71, 0x39a8, v69
	v_fma_f16 v53, v53, 2.0, -v49
	v_fma_f16 v111, v111, 2.0, -v112
	v_fma_f16 v115, v115, 2.0, -v116
	v_fmamk_f16 v131, v62, 0xb9a8, v60
	v_sub_f16_e32 v112, v51, v112
	v_add_f16_e32 v49, v110, v49
	v_fmac_f16_e32 v125, 0x39a8, v63
	v_fmamk_f16 v63, v66, 0xb9a8, v64
	v_sub_f16_e32 v116, v50, v116
	v_fmac_f16_e32 v127, 0x39a8, v67
	v_fma_f16 v120, v159, 2.0, -v73
	v_fma_f16 v122, v163, 2.0, -v108
	v_add_f16_e32 v56, v73, v56
	v_sub_f16_e32 v17, v1, v17
	v_sub_f16_e32 v117, v4, v117
	v_fma_f16 v68, v68, 2.0, -v59
	v_sub_f16_e32 v19, v3, v19
	v_sub_f16_e32 v119, v118, v119
	v_fma_f16 v70, v70, 2.0, -v55
	;; [unrolled: 3-line block ×3, first 2 shown]
	v_fmamk_f16 v129, v55, 0x39a8, v59
	v_fma_f16 v2, v2, 2.0, -v51
	v_fma_f16 v72, v72, 2.0, -v110
	;; [unrolled: 1-line block ×4, first 2 shown]
	v_fmamk_f16 v130, v45, 0xb9a8, v47
	v_fmac_f16_e32 v124, 0xb9a8, v18
	v_fmamk_f16 v18, v44, 0xb9a8, v46
	v_add_f16_e32 v48, v114, v48
	v_fmac_f16_e32 v126, 0xb9a8, v20
	v_fmac_f16_e32 v128, 0xb9a8, v55
	v_fmamk_f16 v55, v41, 0xb9a8, v39
	v_fmac_f16_e32 v131, 0x39a8, v45
	v_fma_f16 v45, v51, 2.0, -v112
	v_fma_f16 v51, v110, 2.0, -v49
	;; [unrolled: 1-line block ×3, first 2 shown]
	v_fmac_f16_e32 v63, 0x39a8, v44
	v_fma_f16 v42, v42, 2.0, -v127
	v_fmamk_f16 v110, v116, 0x39a8, v112
	v_fma_f16 v37, v37, 2.0, -v69
	v_fma_f16 v40, v40, 2.0, -v71
	v_sub_f16_e32 v121, v120, v121
	v_fma_f16 v73, v73, 2.0, -v56
	v_sub_f16_e32 v123, v122, v123
	v_fma_f16 v54, v54, 2.0, -v50
	v_fma_f16 v1, v1, 2.0, -v17
	;; [unrolled: 1-line block ×7, first 2 shown]
	v_fmamk_f16 v133, v70, 0xb9a8, v68
	v_sub_f16_e32 v134, v17, v119
	v_add_f16_e32 v135, v117, v19
	v_sub_f16_e32 v19, v2, v53
	v_sub_f16_e32 v53, v72, v111
	v_fmac_f16_e32 v130, 0xb9a8, v62
	v_fma_f16 v61, v61, 2.0, -v124
	v_sub_f16_e32 v62, v113, v115
	v_fmac_f16_e32 v18, 0xb9a8, v66
	v_fma_f16 v44, v50, 2.0, -v116
	v_fma_f16 v50, v114, 2.0, -v48
	;; [unrolled: 1-line block ×3, first 2 shown]
	v_fmamk_f16 v111, v48, 0x39a8, v49
	v_fmac_f16_e32 v55, 0xb9a8, v108
	v_fma_f16 v60, v60, 2.0, -v131
	v_fma_f16 v64, v64, 2.0, -v63
	v_fmamk_f16 v140, v42, 0xb61f, v43
	v_fmac_f16_e32 v110, 0xb9a8, v48
	v_fmamk_f16 v48, v63, 0x361f, v131
	v_fma_f16 v67, v120, 2.0, -v121
	v_fma_f16 v118, v122, 2.0, -v123
	v_fmamk_f16 v132, v40, 0xb9a8, v37
	v_fmac_f16_e32 v129, 0x39a8, v71
	v_fmamk_f16 v71, v108, 0xb9a8, v73
	v_sub_f16_e32 v52, v54, v52
	v_sub_f16_e32 v3, v1, v3
	;; [unrolled: 1-line block ×3, first 2 shown]
	v_fmac_f16_e32 v133, 0x39a8, v40
	v_fma_f16 v20, v17, 2.0, -v134
	v_sub_f16_e32 v25, v26, v25
	v_fma_f16 v17, v72, 2.0, -v53
	v_fma_f16 v47, v47, 2.0, -v130
	;; [unrolled: 1-line block ×4, first 2 shown]
	v_fmamk_f16 v139, v65, 0xb61f, v61
	v_fmamk_f16 v142, v18, 0x361f, v130
	;; [unrolled: 1-line block ×3, first 2 shown]
	v_fmac_f16_e32 v140, 0x3b64, v65
	v_fmac_f16_e32 v48, 0x3b64, v18
	v_fma_f16 v18, v39, 2.0, -v55
	v_fmamk_f16 v39, v109, 0x39a8, v100
	v_fmamk_f16 v65, v22, 0x39a8, v56
	;; [unrolled: 1-line block ×3, first 2 shown]
	v_fmac_f16_e32 v132, 0xb9a8, v70
	v_sub_f16_e32 v70, v67, v118
	v_fma_f16 v2, v2, 2.0, -v19
	v_fma_f16 v54, v54, 2.0, -v52
	v_sub_f16_e32 v141, v19, v62
	v_fma_f16 v1, v1, 2.0, -v3
	v_fma_f16 v62, v68, 2.0, -v133
	;; [unrolled: 1-line block ×3, first 2 shown]
	v_sub_f16_e32 v68, v17, v72
	v_fmamk_f16 v72, v46, 0xbb64, v47
	v_fmac_f16_e32 v143, 0x361f, v46
	v_fmac_f16_e32 v71, 0x39a8, v41
	v_sub_f16_e32 v41, v36, v123
	v_add_f16_e32 v27, v121, v27
	v_fmac_f16_e32 v39, 0xb9a8, v22
	v_fmac_f16_e32 v65, 0x39a8, v109
	v_fmamk_f16 v108, v44, 0xb9a8, v45
	v_fmamk_f16 v138, v50, 0xb9a8, v51
	;; [unrolled: 1-line block ×3, first 2 shown]
	v_fma_f16 v40, v117, 2.0, -v135
	v_fma_f16 v69, v69, 2.0, -v128
	;; [unrolled: 1-line block ×3, first 2 shown]
	v_add_f16_e32 v52, v53, v52
	v_fmac_f16_e32 v136, 0xb61f, v127
	v_fma_f16 v4, v4, 2.0, -v66
	v_fma_f16 v37, v37, 2.0, -v132
	v_sub_f16_e32 v54, v2, v54
	v_fmac_f16_e32 v139, 0xbb64, v42
	v_fma_f16 v42, v19, 2.0, -v141
	v_fma_f16 v145, v17, 2.0, -v68
	v_fmac_f16_e32 v72, 0xb61f, v64
	v_fma_f16 v146, v60, 2.0, -v143
	v_fma_f16 v17, v67, 2.0, -v70
	v_fma_f16 v19, v73, 2.0, -v71
	v_fma_f16 v36, v36, 2.0, -v41
	v_fma_f16 v60, v121, 2.0, -v27
	v_sub_f16_e32 v113, v1, v26
	v_fma_f16 v26, v100, 2.0, -v39
	v_fma_f16 v56, v56, 2.0, -v65
	v_fmac_f16_e32 v108, 0xb9a8, v50
	v_fmac_f16_e32 v138, 0x39a8, v44
	;; [unrolled: 1-line block ×5, first 2 shown]
	v_fma_f16 v44, v53, 2.0, -v52
	v_fma_f16 v50, v112, 2.0, -v110
	v_fma_f16 v53, v124, 2.0, -v136
	v_fma_f16 v2, v2, 2.0, -v54
	v_fma_f16 v47, v47, 2.0, -v72
	v_sub_f16_e32 v119, v4, v17
	v_fmamk_f16 v112, v18, 0xbb64, v37
	v_fma_f16 v17, v1, 2.0, -v113
	v_fmamk_f16 v118, v19, 0xbb64, v62
	v_fmamk_f16 v114, v36, 0xb9a8, v20
	;; [unrolled: 1-line block ×11, first 2 shown]
	v_and_or_b32 v1, 0x1fc0, v102, v99
	v_fma_f16 v45, v45, 2.0, -v108
	v_fma_f16 v46, v51, 2.0, -v138
	;; [unrolled: 1-line block ×4, first 2 shown]
	v_sub_f16_e32 v117, v3, v70
	v_fma_f16 v130, v130, 2.0, -v142
	v_fma_f16 v131, v131, 2.0, -v48
	;; [unrolled: 1-line block ×4, first 2 shown]
	v_fmac_f16_e32 v112, 0xb61f, v19
	v_fmac_f16_e32 v118, 0x361f, v18
	;; [unrolled: 1-line block ×6, first 2 shown]
	v_add_f16_e32 v125, v66, v25
	v_fmac_f16_e32 v116, 0xbb64, v71
	v_fmac_f16_e32 v124, 0x3b64, v55
	;; [unrolled: 1-line block ×6, first 2 shown]
	v_lshlrev_b32_e32 v109, 2, v1
	v_pack_b32_f16 v1, v2, v145
	v_pack_b32_f16 v2, v47, v146
	v_fma_f16 v22, v4, 2.0, -v119
	v_fma_f16 v36, v3, 2.0, -v117
	v_pack_b32_f16 v3, v45, v46
	v_pack_b32_f16 v4, v51, v43
	;; [unrolled: 1-line block ×4, first 2 shown]
	v_fma_f16 v18, v37, 2.0, -v112
	v_fma_f16 v60, v62, 2.0, -v118
	;; [unrolled: 1-line block ×13, first 2 shown]
	ds_write2_b32 v109, v1, v2 offset1:4
	ds_write2_b32 v109, v3, v4 offset0:8 offset1:12
	ds_write2_b32 v109, v25, v26 offset0:16 offset1:20
	v_pack_b32_f16 v1, v50, v49
	v_pack_b32_f16 v2, v53, v144
	;; [unrolled: 1-line block ×10, first 2 shown]
	ds_write2_b32 v109, v1, v2 offset0:24 offset1:28
	ds_write2_b32 v109, v3, v4 offset0:32 offset1:36
	;; [unrolled: 1-line block ×5, first 2 shown]
	s_and_saveexec_b32 s1, s0
	s_cbranch_execz .LBB0_11
; %bb.10:
	v_and_or_b32 v1, 0x3fc0, v98, v99
	v_perm_b32 v2, v22, v17, 0x5040100
	v_perm_b32 v3, v60, v18, 0x5040100
	;; [unrolled: 1-line block ×4, first 2 shown]
	v_lshlrev_b32_e32 v1, 2, v1
	v_perm_b32 v26, v63, v36, 0x5040100
	v_perm_b32 v27, v64, v37, 0x5040100
	;; [unrolled: 1-line block ×4, first 2 shown]
	ds_write2_b32 v1, v2, v3 offset1:4
	ds_write2_b32 v1, v4, v25 offset0:8 offset1:12
	ds_write2_b32 v1, v26, v27 offset0:16 offset1:20
	v_perm_b32 v2, v65, v39, 0x5040100
	v_perm_b32 v3, v66, v40, 0x5040100
	v_perm_b32 v4, v119, v113, 0x5040100
	v_perm_b32 v25, v118, v112, 0x5040100
	v_perm_b32 v26, v121, v114, 0x5040100
	v_perm_b32 v27, v122, v115, 0x5040100
	v_perm_b32 v43, v126, v120, 0x5040100
	v_perm_b32 v44, v127, v123, 0x5040100
	ds_write2_b32 v1, v2, v3 offset0:24 offset1:28
	ds_write2_b32 v1, v4, v25 offset0:32 offset1:36
	;; [unrolled: 1-line block ×5, first 2 shown]
.LBB0_11:
	s_or_b32 exec_lo, exec_lo, s1
	s_waitcnt lgkmcnt(0)
	s_barrier
	buffer_gl0_inv
	ds_read2st64_b32 v[41:42], v76 offset1:8
	ds_read2st64_b32 v[43:44], v76 offset0:21 offset1:29
	ds_read2st64_b32 v[45:46], v76 offset0:42 offset1:50
	;; [unrolled: 1-line block ×7, first 2 shown]
	v_cmp_lt_u64_e64 s2, 0x53f, v[23:24]
	v_cmp_gt_u64_e64 s1, 0x540, v[23:24]
	s_and_saveexec_b32 s3, s1
	s_cbranch_execz .LBB0_13
; %bb.12:
	ds_read2st64_b32 v[17:18], v76 offset0:16 offset1:37
	ds_read2st64_b32 v[19:20], v76 offset0:58 offset1:79
	;; [unrolled: 1-line block ×4, first 2 shown]
	s_waitcnt lgkmcnt(3)
	v_lshrrev_b32_e32 v22, 16, v17
	v_lshrrev_b32_e32 v60, 16, v18
	s_waitcnt lgkmcnt(2)
	v_lshrrev_b32_e32 v61, 16, v19
	v_lshrrev_b32_e32 v62, 16, v20
	;; [unrolled: 3-line block ×4, first 2 shown]
.LBB0_13:
	s_or_b32 exec_lo, exec_lo, s3
	v_and_b32_e32 v100, 63, v0
	v_lshlrev_b32_e32 v59, 3, v0
	s_waitcnt lgkmcnt(6)
	v_lshrrev_b32_e32 v68, 16, v43
	s_waitcnt lgkmcnt(5)
	v_lshrrev_b32_e32 v69, 16, v45
	;; [unrolled: 2-line block ×3, first 2 shown]
	v_mad_u64_u32 v[24:25], null, v100, 28, s[4:5]
	s_waitcnt lgkmcnt(3)
	v_lshrrev_b32_e32 v71, 16, v49
	s_waitcnt lgkmcnt(2)
	v_lshrrev_b32_e32 v72, 16, v51
	;; [unrolled: 2-line block ×4, first 2 shown]
	v_and_or_b32 v110, 0xe00, v59, v100
	v_lshrrev_b32_e32 v130, 16, v44
	s_clause 0x1
	global_load_dwordx4 v[1:4], v[24:25], off offset:240
	global_load_dwordx3 v[25:27], v[24:25], off offset:256
	v_lshlrev_b32_e32 v24, 3, v21
	v_lshrrev_b32_e32 v131, 16, v46
	v_lshrrev_b32_e32 v132, 16, v48
	;; [unrolled: 1-line block ×4, first 2 shown]
	v_and_or_b32 v136, 0x1e00, v24, v100
	v_lshrrev_b32_e32 v135, 16, v54
	v_lshrrev_b32_e32 v137, 16, v56
	v_lshlrev_b32_e32 v111, 2, v110
	v_lshrrev_b32_e32 v67, 16, v41
	v_lshlrev_b32_e32 v110, 2, v136
	v_lshrrev_b32_e32 v129, 16, v42
	v_mov_b32_e32 v59, 0
	v_lshlrev_b32_e32 v108, 3, v23
	s_waitcnt vmcnt(0)
	s_barrier
	buffer_gl0_inv
	v_mul_f16_sdwa v136, v68, v1 dst_sel:DWORD dst_unused:UNUSED_PAD src0_sel:DWORD src1_sel:WORD_1
	v_mul_f16_sdwa v138, v43, v1 dst_sel:DWORD dst_unused:UNUSED_PAD src0_sel:DWORD src1_sel:WORD_1
	;; [unrolled: 1-line block ×42, first 2 shown]
	v_fma_f16 v43, v43, v1, -v136
	v_fmac_f16_e32 v138, v68, v1
	v_fma_f16 v45, v45, v2, -v139
	v_fmac_f16_e32 v140, v69, v2
	;; [unrolled: 2-line block ×21, first 2 shown]
	v_sub_f16_e32 v39, v41, v49
	v_sub_f16_e32 v40, v67, v144
	;; [unrolled: 1-line block ×24, first 2 shown]
	v_fma_f16 v132, v41, 2.0, -v39
	v_fma_f16 v67, v67, 2.0, -v40
	v_fma_f16 v45, v45, 2.0, -v37
	v_fma_f16 v133, v140, 2.0, -v49
	v_fma_f16 v134, v43, 2.0, -v51
	v_fma_f16 v135, v138, 2.0, -v53
	v_fma_f16 v43, v47, 2.0, -v55
	v_fma_f16 v47, v142, 2.0, -v62
	v_sub_f16_e32 v49, v39, v49
	v_add_f16_e32 v136, v40, v37
	v_sub_f16_e32 v62, v51, v62
	v_add_f16_e32 v55, v53, v55
	v_fma_f16 v137, v42, 2.0, -v50
	v_fma_f16 v129, v129, 2.0, -v63
	v_fma_f16 v46, v46, 2.0, -v54
	v_fma_f16 v138, v154, 2.0, -v64
	v_fma_f16 v139, v44, 2.0, -v52
	v_fma_f16 v140, v152, 2.0, -v65
	v_fma_f16 v44, v48, 2.0, -v56
	v_fma_f16 v48, v156, 2.0, -v66
	v_sub_f16_e32 v64, v50, v64
	v_add_f16_e32 v54, v63, v54
	v_sub_f16_e32 v66, v52, v66
	v_add_f16_e32 v56, v65, v56
	;; [unrolled: 12-line block ×3, first 2 shown]
	v_sub_f16_e32 v71, v132, v45
	v_sub_f16_e32 v72, v67, v133
	v_fma_f16 v130, v39, 2.0, -v49
	v_fma_f16 v131, v40, 2.0, -v136
	v_sub_f16_e32 v133, v134, v43
	v_sub_f16_e32 v141, v135, v47
	v_fma_f16 v51, v51, 2.0, -v62
	v_fma_f16 v142, v53, 2.0, -v55
	v_fmamk_f16 v143, v62, 0x39a8, v49
	v_fmamk_f16 v144, v55, 0x39a8, v136
	v_sub_f16_e32 v145, v137, v46
	v_sub_f16_e32 v138, v129, v138
	v_fma_f16 v50, v50, 2.0, -v64
	v_fma_f16 v63, v63, 2.0, -v54
	v_sub_f16_e32 v146, v139, v44
	v_sub_f16_e32 v147, v140, v48
	v_fma_f16 v52, v52, 2.0, -v66
	v_fma_f16 v65, v65, 2.0, -v56
	v_fmamk_f16 v148, v66, 0x39a8, v64
	v_fmamk_f16 v149, v56, 0x39a8, v54
	v_sub_f16_e32 v39, v18, v60
	v_fma_f16 v46, v69, 2.0, -v37
	v_fma_f16 v43, v70, 2.0, -v17
	v_sub_f16_e32 v45, v36, v61
	v_sub_f16_e32 v44, v20, v68
	v_fma_f16 v60, v132, 2.0, -v71
	v_fma_f16 v61, v67, 2.0, -v72
	;; [unrolled: 1-line block ×4, first 2 shown]
	v_fmamk_f16 v69, v51, 0xb9a8, v130
	v_fmamk_f16 v70, v142, 0xb9a8, v131
	v_fma_f16 v47, v73, 2.0, -v41
	v_sub_f16_e32 v73, v71, v141
	v_add_f16_e32 v132, v72, v133
	v_fmac_f16_e32 v143, 0xb9a8, v55
	v_fmac_f16_e32 v144, 0x39a8, v62
	v_fma_f16 v55, v137, 2.0, -v145
	v_fma_f16 v62, v129, 2.0, -v138
	;; [unrolled: 1-line block ×4, first 2 shown]
	v_fmamk_f16 v135, v52, 0xb9a8, v50
	v_fmamk_f16 v137, v65, 0xb9a8, v63
	v_sub_f16_e32 v139, v145, v147
	v_add_f16_e32 v140, v138, v146
	v_fmac_f16_e32 v148, 0xb9a8, v56
	v_fmac_f16_e32 v149, 0x39a8, v66
	v_sub_f16_e32 v56, v60, v67
	v_sub_f16_e32 v66, v61, v68
	v_fmac_f16_e32 v69, 0xb9a8, v142
	v_fmac_f16_e32 v70, 0x39a8, v51
	v_fma_f16 v51, v71, 2.0, -v73
	v_fma_f16 v67, v72, 2.0, -v132
	;; [unrolled: 1-line block ×4, first 2 shown]
	v_sub_f16_e32 v71, v55, v133
	v_sub_f16_e32 v72, v62, v134
	v_fmac_f16_e32 v135, 0xb9a8, v65
	v_fmac_f16_e32 v137, 0x39a8, v52
	v_fma_f16 v48, v128, 2.0, -v42
	v_fma_f16 v52, v145, 2.0, -v139
	;; [unrolled: 1-line block ×13, first 2 shown]
	v_pack_b32_f16 v51, v51, v67
	v_pack_b32_f16 v49, v49, v68
	v_sub_f16_e32 v40, v19, v22
	v_fmamk_f16 v53, v41, 0x39a8, v37
	v_fmamk_f16 v128, v42, 0x39a8, v17
	;; [unrolled: 1-line block ×4, first 2 shown]
	v_pack_b32_f16 v73, v73, v132
	v_pack_b32_f16 v132, v143, v144
	;; [unrolled: 1-line block ×10, first 2 shown]
	ds_write2st64_b32 v111, v51, v49 offset0:2 offset1:3
	v_pack_b32_f16 v49, v55, v62
	v_pack_b32_f16 v50, v50, v63
	;; [unrolled: 1-line block ×4, first 2 shown]
	ds_write2st64_b32 v111, v73, v132 offset0:6 offset1:7
	ds_write2st64_b32 v111, v56, v66 offset0:4 offset1:5
	;; [unrolled: 1-line block ×4, first 2 shown]
	ds_write2st64_b32 v111, v60, v61 offset1:1
	ds_write2st64_b32 v110, v49, v50 offset1:1
	ds_write2st64_b32 v110, v133, v134 offset0:6 offset1:7
	s_and_saveexec_b32 s3, s2
	s_xor_b32 s2, exec_lo, s3
; %bb.14:
                                        ; implicit-def: $vgpr19
                                        ; implicit-def: $vgpr18
                                        ; implicit-def: $vgpr36
                                        ; implicit-def: $vgpr20
                                        ; implicit-def: $vgpr37
                                        ; implicit-def: $vgpr17
                                        ; implicit-def: $vgpr46
                                        ; implicit-def: $vgpr43
; %bb.15:
	s_or_saveexec_b32 s2, s2
	v_fmac_f16_e32 v22, 0xb9a8, v48
	v_fmac_f16_e32 v129, 0x39a8, v47
	v_sub_f16_e32 v52, v40, v44
	v_add_f16_e32 v130, v39, v45
	v_fmac_f16_e32 v53, 0xb9a8, v42
	v_fmac_f16_e32 v128, 0x39a8, v41
	s_xor_b32 exec_lo, exec_lo, s2
	s_cbranch_execz .LBB0_17
; %bb.16:
	v_fma_f16 v19, v19, 2.0, -v40
	v_fma_f16 v36, v36, 2.0, -v45
	;; [unrolled: 1-line block ×5, first 2 shown]
	v_and_or_b32 v42, 0x2e00, v108, v100
	v_sub_f16_e32 v36, v19, v36
	v_fma_f16 v43, v43, 2.0, -v129
	v_sub_f16_e32 v20, v18, v20
	v_fma_f16 v37, v37, 2.0, -v53
	v_fma_f16 v40, v40, 2.0, -v52
	;; [unrolled: 1-line block ×6, first 2 shown]
	v_lshlrev_b32_e32 v42, 2, v42
	v_mov_b32_e32 v59, 0
	v_pack_b32_f16 v39, v40, v39
	v_pack_b32_f16 v18, v19, v18
	;; [unrolled: 1-line block ×5, first 2 shown]
	v_perm_b32 v36, v129, v22, 0x5040100
	v_perm_b32 v37, v130, v52, 0x5040100
	;; [unrolled: 1-line block ×3, first 2 shown]
	ds_write2st64_b32 v42, v18, v19 offset1:1
	ds_write2st64_b32 v42, v39, v17 offset0:2 offset1:3
	ds_write2st64_b32 v42, v20, v36 offset0:4 offset1:5
	;; [unrolled: 1-line block ×3, first 2 shown]
.LBB0_17:
	s_or_b32 exec_lo, exec_lo, s2
	v_mad_u64_u32 v[39:40], null, v0, 24, s[4:5]
	s_waitcnt lgkmcnt(0)
	s_barrier
	buffer_gl0_inv
	s_add_u32 s26, s18, 0xa800
	s_addc_u32 s27, s19, 0
	v_add_co_u32 v36, s2, 0x800, v39
	global_load_dwordx4 v[17:20], v[39:40], off offset:2032
	v_add_co_ci_u32_e64 v37, s2, 0, v40, s2
	global_load_dwordx2 v[36:37], v[36:37], off
	ds_read2st64_b32 v[41:42], v76 offset0:16 offset1:24
	ds_read2st64_b32 v[45:46], v76 offset0:48 offset1:64
	;; [unrolled: 1-line block ×9, first 2 shown]
	ds_read_b32 v51, v76 offset:38912
	ds_read2st64_b32 v[43:44], v76 offset1:8
	v_sub_co_u32 v39, s2, v39, v102
	v_subrev_co_ci_u32_e64 v40, s2, 0, v40, s2
	v_add_co_u32 v24, s2, s4, v24
	s_waitcnt vmcnt(0) lgkmcnt(0)
	s_barrier
	buffer_gl0_inv
	v_lshrrev_b32_e32 v56, 16, v42
	v_lshrrev_b32_e32 v68, 16, v45
	;; [unrolled: 1-line block ×18, first 2 shown]
	v_mul_f16_sdwa v143, v42, v17 dst_sel:DWORD dst_unused:UNUSED_PAD src0_sel:DWORD src1_sel:WORD_1
	v_mul_f16_sdwa v145, v45, v18 dst_sel:DWORD dst_unused:UNUSED_PAD src0_sel:DWORD src1_sel:WORD_1
	v_mul_f16_sdwa v147, v48, v19 dst_sel:DWORD dst_unused:UNUSED_PAD src0_sel:DWORD src1_sel:WORD_1
	v_mul_f16_sdwa v149, v50, v20 dst_sel:DWORD dst_unused:UNUSED_PAD src0_sel:DWORD src1_sel:WORD_1
	v_mul_f16_sdwa v150, v73, v17 dst_sel:DWORD dst_unused:UNUSED_PAD src0_sel:DWORD src1_sel:WORD_1
	v_mul_f16_sdwa v156, v133, v20 dst_sel:DWORD dst_unused:UNUSED_PAD src0_sel:DWORD src1_sel:WORD_1
	v_mul_f16_sdwa v164, v139, v20 dst_sel:DWORD dst_unused:UNUSED_PAD src0_sel:DWORD src1_sel:WORD_1
	v_mul_f16_sdwa v151, v62, v17 dst_sel:DWORD dst_unused:UNUSED_PAD src0_sel:DWORD src1_sel:WORD_1
	v_mul_f16_sdwa v153, v47, v18 dst_sel:DWORD dst_unused:UNUSED_PAD src0_sel:DWORD src1_sel:WORD_1
	v_mul_f16_sdwa v155, v49, v19 dst_sel:DWORD dst_unused:UNUSED_PAD src0_sel:DWORD src1_sel:WORD_1
	v_mul_f16_sdwa v157, v65, v20 dst_sel:DWORD dst_unused:UNUSED_PAD src0_sel:DWORD src1_sel:WORD_1
	v_mul_f16_sdwa v142, v56, v17 dst_sel:DWORD dst_unused:UNUSED_PAD src0_sel:DWORD src1_sel:WORD_1
	v_mul_f16_sdwa v144, v68, v18 dst_sel:DWORD dst_unused:UNUSED_PAD src0_sel:DWORD src1_sel:WORD_1
	v_mul_f16_sdwa v146, v69, v19 dst_sel:DWORD dst_unused:UNUSED_PAD src0_sel:DWORD src1_sel:WORD_1
	v_mul_f16_sdwa v148, v70, v20 dst_sel:DWORD dst_unused:UNUSED_PAD src0_sel:DWORD src1_sel:WORD_1
	v_mul_f16_sdwa v159, v63, v17 dst_sel:DWORD dst_unused:UNUSED_PAD src0_sel:DWORD src1_sel:WORD_1
	v_mul_f16_sdwa v161, v46, v18 dst_sel:DWORD dst_unused:UNUSED_PAD src0_sel:DWORD src1_sel:WORD_1
	v_mul_f16_sdwa v163, v64, v19 dst_sel:DWORD dst_unused:UNUSED_PAD src0_sel:DWORD src1_sel:WORD_1
	v_mul_f16_sdwa v165, v66, v20 dst_sel:DWORD dst_unused:UNUSED_PAD src0_sel:DWORD src1_sel:WORD_1
	v_fmac_f16_e32 v143, v56, v17
	v_fmac_f16_e32 v145, v68, v18
	;; [unrolled: 1-line block ×4, first 2 shown]
	v_fma_f16 v56, v62, v17, -v150
	v_fma_f16 v62, v65, v20, -v156
	;; [unrolled: 1-line block ×3, first 2 shown]
	v_mul_f16_sdwa v66, v71, v36 dst_sel:DWORD dst_unused:UNUSED_PAD src0_sel:DWORD src1_sel:WORD_1
	v_mul_f16_sdwa v68, v54, v36 dst_sel:DWORD dst_unused:UNUSED_PAD src0_sel:DWORD src1_sel:WORD_1
	;; [unrolled: 1-line block ×6, first 2 shown]
	v_fmac_f16_e32 v151, v73, v17
	v_fmac_f16_e32 v153, v131, v18
	;; [unrolled: 1-line block ×4, first 2 shown]
	v_mul_f16_sdwa v73, v134, v36 dst_sel:DWORD dst_unused:UNUSED_PAD src0_sel:DWORD src1_sel:WORD_1
	v_mul_f16_sdwa v131, v67, v36 dst_sel:DWORD dst_unused:UNUSED_PAD src0_sel:DWORD src1_sel:WORD_1
	;; [unrolled: 1-line block ×7, first 2 shown]
	v_fma_f16 v42, v42, v17, -v142
	v_fma_f16 v45, v45, v18, -v144
	v_fmac_f16_e32 v159, v136, v17
	v_fmac_f16_e32 v161, v137, v18
	;; [unrolled: 1-line block ×4, first 2 shown]
	v_mul_f16_sdwa v136, v140, v36 dst_sel:DWORD dst_unused:UNUSED_PAD src0_sel:DWORD src1_sel:WORD_1
	v_mul_f16_sdwa v137, v55, v36 dst_sel:DWORD dst_unused:UNUSED_PAD src0_sel:DWORD src1_sel:WORD_1
	;; [unrolled: 1-line block ×4, first 2 shown]
	v_fma_f16 v54, v54, v36, -v66
	v_fmac_f16_e32 v68, v71, v36
	v_fma_f16 v60, v60, v37, -v69
	v_fmac_f16_e32 v70, v72, v37
	v_fma_f16 v48, v48, v19, -v146
	v_fma_f16 v50, v50, v20, -v148
	;; [unrolled: 1-line block ×4, first 2 shown]
	v_fmac_f16_e32 v131, v134, v36
	v_fma_f16 v51, v51, v37, -v132
	v_fmac_f16_e32 v133, v135, v37
	v_fma_f16 v49, v49, v19, -v154
	v_fma_f16 v63, v63, v17, -v158
	;; [unrolled: 1-line block ×5, first 2 shown]
	v_fmac_f16_e32 v137, v140, v36
	v_fma_f16 v61, v61, v37, -v138
	v_fmac_f16_e32 v139, v141, v37
	v_add_f16_e32 v67, v42, v60
	v_add_f16_e32 v69, v143, v70
	v_sub_f16_e32 v42, v42, v60
	v_sub_f16_e32 v60, v143, v70
	v_add_f16_e32 v70, v45, v54
	v_add_f16_e32 v71, v145, v68
	;; [unrolled: 1-line block ×4, first 2 shown]
	v_sub_f16_e32 v48, v50, v48
	v_sub_f16_e32 v50, v149, v147
	;; [unrolled: 1-line block ×4, first 2 shown]
	v_add_f16_e32 v68, v56, v51
	v_add_f16_e32 v72, v151, v133
	;; [unrolled: 1-line block ×6, first 2 shown]
	v_sub_f16_e32 v49, v62, v49
	v_sub_f16_e32 v62, v157, v155
	v_add_f16_e32 v148, v64, v65
	v_sub_f16_e32 v64, v65, v64
	v_sub_f16_e32 v65, v165, v163
	;; [unrolled: 1-line block ×6, first 2 shown]
	v_add_f16_e32 v131, v63, v61
	v_add_f16_e32 v133, v159, v139
	v_sub_f16_e32 v61, v63, v61
	v_sub_f16_e32 v63, v159, v139
	v_add_f16_e32 v134, v46, v55
	v_add_f16_e32 v135, v161, v137
	v_sub_f16_e32 v46, v46, v55
	v_sub_f16_e32 v55, v161, v137
	;; [unrolled: 4-line block ×3, first 2 shown]
	v_sub_f16_e32 v67, v67, v142
	v_sub_f16_e32 v69, v69, v144
	;; [unrolled: 1-line block ×4, first 2 shown]
	v_add_f16_e32 v140, v48, v45
	v_add_f16_e32 v141, v50, v54
	v_sub_f16_e32 v143, v48, v45
	v_sub_f16_e32 v145, v50, v54
	;; [unrolled: 1-line block ×4, first 2 shown]
	v_add_f16_e32 v150, v73, v68
	v_add_f16_e32 v151, v132, v72
	;; [unrolled: 1-line block ×3, first 2 shown]
	v_sub_f16_e32 v152, v73, v68
	v_sub_f16_e32 v153, v132, v72
	v_sub_f16_e32 v73, v146, v73
	v_sub_f16_e32 v132, v147, v132
	v_add_f16_e32 v154, v49, v47
	v_add_f16_e32 v155, v62, v66
	v_sub_f16_e32 v156, v49, v47
	v_sub_f16_e32 v157, v62, v66
	;; [unrolled: 1-line block ×4, first 2 shown]
	v_add_f16_e32 v158, v134, v131
	v_add_f16_e32 v159, v135, v133
	;; [unrolled: 1-line block ×4, first 2 shown]
	v_sub_f16_e32 v164, v64, v46
	v_sub_f16_e32 v165, v65, v55
	;; [unrolled: 1-line block ×4, first 2 shown]
	v_add_f16_e32 v136, v142, v136
	v_add_f16_e32 v137, v144, v137
	v_sub_f16_e32 v48, v42, v48
	v_sub_f16_e32 v50, v60, v50
	;; [unrolled: 1-line block ×4, first 2 shown]
	v_add_f16_e32 v42, v140, v42
	v_add_f16_e32 v60, v141, v60
	v_mul_f16_e32 v67, 0x3a52, v67
	v_mul_f16_e32 v69, 0x3a52, v69
	;; [unrolled: 1-line block ×8, first 2 shown]
	v_add_f16_e32 v146, v146, v150
	v_add_f16_e32 v147, v147, v151
	v_sub_f16_e32 v49, v51, v49
	v_sub_f16_e32 v62, v56, v62
	;; [unrolled: 1-line block ×10, first 2 shown]
	v_add_f16_e32 v51, v154, v51
	v_add_f16_e32 v56, v155, v56
	v_mul_f16_e32 v150, 0x2b26, v73
	v_mul_f16_e32 v151, 0x2b26, v132
	;; [unrolled: 1-line block ×6, first 2 shown]
	v_add_f16_e32 v148, v148, v158
	v_add_f16_e32 v149, v149, v159
	;; [unrolled: 1-line block ×4, first 2 shown]
	v_mul_f16_e32 v162, 0xb846, v164
	v_mul_f16_e32 v163, 0xb846, v165
	;; [unrolled: 1-line block ×4, first 2 shown]
	v_add_f16_e32 v166, v43, v136
	v_add_f16_sdwa v43, v43, v137 dst_sel:DWORD dst_unused:UNUSED_PAD src0_sel:WORD_1 src1_sel:DWORD
	v_mul_f16_e32 v68, 0x3a52, v68
	v_mul_f16_e32 v72, 0x3a52, v72
	v_fmamk_f16 v70, v70, 0x2b26, v67
	v_fmamk_f16 v71, v71, 0x2b26, v69
	v_fma_f16 v140, v138, 0x39e0, -v140
	v_fma_f16 v141, v139, 0x39e0, -v141
	;; [unrolled: 1-line block ×4, first 2 shown]
	v_fmamk_f16 v138, v48, 0x3574, v142
	v_fmamk_f16 v139, v50, 0x3574, v143
	v_fma_f16 v45, v45, 0x3b00, -v142
	v_fma_f16 v54, v54, 0x3b00, -v143
	;; [unrolled: 1-line block ×4, first 2 shown]
	v_add_f16_e32 v142, v44, v146
	v_add_f16_sdwa v44, v44, v147 dst_sel:DWORD dst_unused:UNUSED_PAD src0_sel:WORD_1 src1_sel:DWORD
	v_mul_f16_e32 v131, 0x3a52, v131
	v_mul_f16_e32 v133, 0x3a52, v133
	;; [unrolled: 1-line block ×4, first 2 shown]
	v_fma_f16 v143, v152, 0x39e0, -v150
	v_fma_f16 v144, v153, 0x39e0, -v151
	v_fmamk_f16 v145, v49, 0x3574, v154
	v_fmamk_f16 v150, v62, 0x3574, v155
	v_fma_f16 v47, v47, 0x3b00, -v154
	v_fma_f16 v66, v66, 0x3b00, -v155
	;; [unrolled: 1-line block ×4, first 2 shown]
	v_add_f16_e32 v151, v41, v148
	v_add_f16_sdwa v41, v41, v149 dst_sel:DWORD dst_unused:UNUSED_PAD src0_sel:WORD_1 src1_sel:DWORD
	v_fmamk_f16 v154, v64, 0x3574, v162
	v_fmamk_f16 v155, v65, 0x3574, v163
	v_fma_f16 v46, v46, 0x3b00, -v162
	v_fma_f16 v55, v55, 0x3b00, -v163
	v_fma_f16 v64, v64, 0xb574, -v164
	v_fma_f16 v65, v65, 0xb574, -v165
	v_fmamk_f16 v136, v136, 0xbcab, v166
	v_fmamk_f16 v137, v137, 0xbcab, v43
	;; [unrolled: 1-line block ×4, first 2 shown]
	v_fmac_f16_e32 v138, 0x370e, v42
	v_fmac_f16_e32 v139, 0x370e, v60
	;; [unrolled: 1-line block ×6, first 2 shown]
	v_fmamk_f16 v42, v146, 0xbcab, v142
	v_fmamk_f16 v60, v147, 0xbcab, v44
	v_fma_f16 v68, v152, 0xb9e0, -v68
	v_fma_f16 v72, v153, 0xb9e0, -v72
	v_fmamk_f16 v134, v134, 0x2b26, v131
	v_fmamk_f16 v135, v135, 0x2b26, v133
	v_fma_f16 v152, v160, 0x39e0, -v158
	v_fma_f16 v153, v161, 0x39e0, -v159
	;; [unrolled: 1-line block ×4, first 2 shown]
	v_fmac_f16_e32 v145, 0x370e, v51
	v_fmac_f16_e32 v150, 0x370e, v56
	;; [unrolled: 1-line block ×6, first 2 shown]
	v_fmamk_f16 v51, v148, 0xbcab, v151
	v_fmamk_f16 v56, v149, 0xbcab, v41
	v_fmac_f16_e32 v154, 0x370e, v61
	v_fmac_f16_e32 v155, 0x370e, v63
	;; [unrolled: 1-line block ×6, first 2 shown]
	v_add_f16_e32 v61, v70, v136
	v_add_f16_e32 v63, v71, v137
	;; [unrolled: 1-line block ×19, first 2 shown]
	v_sub_f16_e32 v133, v63, v138
	v_pack_b32_f16 v44, v142, v44
	v_add_f16_e32 v140, v50, v67
	v_sub_f16_e32 v141, v69, v48
	v_sub_f16_e32 v142, v70, v54
	v_add_f16_e32 v143, v45, v71
	v_add_f16_e32 v54, v54, v70
	v_sub_f16_e32 v45, v71, v45
	v_sub_f16_e32 v50, v67, v50
	v_add_f16_e32 v48, v48, v69
	v_sub_f16_e32 v61, v61, v139
	v_add_f16_e32 v63, v138, v63
	v_add_f16_e32 v67, v150, v73
	v_sub_f16_e32 v69, v132, v145
	v_add_f16_e32 v70, v62, v42
	v_sub_f16_e32 v71, v60, v49
	v_sub_f16_e32 v42, v42, v62
	v_add_f16_e32 v49, v49, v60
	v_pack_b32_f16 v43, v166, v43
	v_sub_f16_e32 v138, v136, v66
	v_add_f16_e32 v139, v47, v137
	v_add_f16_e32 v66, v66, v136
	v_sub_f16_e32 v47, v137, v47
	v_sub_f16_e32 v60, v73, v150
	v_add_f16_e32 v62, v145, v132
	v_add_f16_e32 v73, v155, v68
	v_sub_f16_e32 v132, v72, v154
	v_add_f16_e32 v136, v65, v51
	v_sub_f16_e32 v137, v56, v64
	v_sub_f16_e32 v144, v134, v55
	v_add_f16_e32 v145, v46, v135
	v_add_f16_e32 v55, v55, v134
	v_sub_f16_e32 v46, v135, v46
	v_sub_f16_e32 v51, v51, v65
	v_add_f16_e32 v56, v64, v56
	v_sub_f16_e32 v64, v68, v155
	v_add_f16_e32 v65, v154, v72
	v_pack_b32_f16 v68, v131, v133
	v_pack_b32_f16 v72, v140, v141
	;; [unrolled: 1-line block ×19, first 2 shown]
	ds_write2st64_b32 v76, v43, v68 offset1:8
	ds_write2st64_b32 v76, v72, v131 offset0:16 offset1:24
	ds_write2st64_b32 v76, v45, v48 offset0:32 offset1:40
	;; [unrolled: 1-line block ×8, first 2 shown]
	ds_write_b32 v76, v51 offset:38912
	ds_write2st64_b32 v76, v46, v55 offset0:144 offset1:160
	v_add_co_ci_u32_e64 v42, null, s5, 0, s2
	v_add_co_u32 v39, s2, 0x3000, v39
	v_add_co_ci_u32_e64 v40, s2, 0, v40, s2
	v_add_co_u32 v41, s2, 0x3000, v24
	v_add_co_ci_u32_e64 v42, s2, 0, v42, s2
	;; [unrolled: 2-line block ×3, first 2 shown]
	v_lshlrev_b32_e32 v45, 3, v57
	v_add_co_u32 v43, s2, 0x3000, v24
	v_lshlrev_b32_e32 v24, 3, v58
	v_add_co_ci_u32_e64 v44, s2, 0, v44, s2
	v_add_co_u32 v45, s2, s4, v45
	v_add_co_ci_u32_e64 v46, null, s5, 0, s2
	v_add_co_u32 v24, s2, s4, v24
	v_add_co_ci_u32_e64 v47, null, s5, 0, s2
	v_add_co_u32 v54, s2, 0x3000, v45
	v_add_co_ci_u32_e64 v55, s2, 0, v46, s2
	v_add_co_u32 v56, s2, 0x3000, v24
	v_lshlrev_b32_e32 v24, 3, v38
	v_add_co_ci_u32_e64 v57, s2, 0, v47, s2
	s_waitcnt lgkmcnt(0)
	s_barrier
	buffer_gl0_inv
	s_clause 0x4
	global_load_dwordx2 v[50:51], v[39:40], off offset:2032
	global_load_dwordx2 v[48:49], v[41:42], off offset:2032
	global_load_dwordx2 v[46:47], v[43:44], off offset:2032
	global_load_dwordx2 v[42:43], v[54:55], off offset:2032
	global_load_dwordx2 v[38:39], v[56:57], off offset:2032
	v_lshl_or_b32 v40, v0, 3, 0x6000
	v_add_co_u32 v24, s2, s4, v24
	v_add_co_ci_u32_e64 v41, null, s5, 0, s2
	v_add_co_u32 v44, s2, s4, v40
	v_add_co_ci_u32_e64 v45, null, s5, 0, s2
	v_add_co_u32 v40, s2, 0x3000, v24
	v_add_co_ci_u32_e64 v41, s2, 0, v41, s2
	v_add_co_u32 v54, s2, 0x3000, v44
	v_add_co_ci_u32_e64 v55, s2, 0, v45, s2
	s_clause 0x1
	global_load_dwordx2 v[44:45], v[40:41], off offset:2032
	global_load_dwordx2 v[40:41], v[54:55], off offset:2032
	ds_read2st64_b32 v[143:144], v76 offset1:8
	ds_read2st64_b32 v[145:146], v76 offset0:56 offset1:72
	ds_read2st64_b32 v[147:148], v76 offset0:112 offset1:128
	;; [unrolled: 1-line block ×9, first 2 shown]
	ds_read_b32 v65, v76 offset:38912
	v_lshlrev_b32_e32 v69, 2, v21
	v_add_co_u32 v21, s2, s26, v76
	v_add_co_ci_u32_e64 v131, null, s27, 0, s2
	v_lshlrev_b32_e32 v132, 2, v23
	v_add_co_u32 v56, s11, 0x2800, v21
	v_add_co_u32 v23, s8, 0x7800, v21
	;; [unrolled: 1-line block ×4, first 2 shown]
	s_waitcnt lgkmcnt(9)
	v_lshrrev_b32_e32 v73, 16, v145
	s_waitcnt lgkmcnt(8)
	v_lshrrev_b32_e32 v135, 16, v147
	;; [unrolled: 2-line block ×4, first 2 shown]
	v_lshrrev_b32_e32 v162, 16, v146
	v_lshrrev_b32_e32 v163, 16, v148
	s_waitcnt lgkmcnt(4)
	v_lshrrev_b32_e32 v165, 16, v153
	v_lshrrev_b32_e32 v166, 16, v150
	s_waitcnt lgkmcnt(2)
	;; [unrolled: 3-line block ×3, first 2 shown]
	v_lshrrev_b32_e32 v172, 16, v65
	v_lshrrev_b32_e32 v169, 16, v159
	;; [unrolled: 1-line block ×11, first 2 shown]
	v_add_co_ci_u32_e64 v57, s11, 0, v131, s11
	v_add_co_ci_u32_e64 v24, s8, 0, v131, s8
	v_add_co_u32 v60, s6, 0x5800, v21
	v_add_co_ci_u32_e64 v55, s10, 0, v131, s10
	v_add_co_u32 v62, s7, 0x8000, v21
	v_add_co_u32 v64, s2, 0x3800, v21
	v_add_co_ci_u32_e64 v59, s8, 0, v131, s9
	v_add_co_u32 v66, s3, 0x6000, v21
	;; [unrolled: 3-line block ×3, first 2 shown]
	v_add_co_u32 v136, s13, 0x9000, v21
	v_add_co_u32 v138, s14, 0x4800, v21
	v_add_co_ci_u32_e64 v63, s6, 0, v131, s7
	v_add_co_u32 v134, s12, 0x6800, v21
	v_add_co_u32 v140, s15, 0x7000, v21
	v_add_co_u32 v142, s16, 0x9800, v21
	s_waitcnt vmcnt(6)
	v_mul_f16_sdwa v175, v73, v50 dst_sel:DWORD dst_unused:UNUSED_PAD src0_sel:DWORD src1_sel:WORD_1
	v_mul_f16_sdwa v176, v145, v50 dst_sel:DWORD dst_unused:UNUSED_PAD src0_sel:DWORD src1_sel:WORD_1
	v_mul_f16_sdwa v177, v135, v51 dst_sel:DWORD dst_unused:UNUSED_PAD src0_sel:DWORD src1_sel:WORD_1
	v_mul_f16_sdwa v178, v147, v51 dst_sel:DWORD dst_unused:UNUSED_PAD src0_sel:DWORD src1_sel:WORD_1
	s_waitcnt vmcnt(5)
	v_mul_f16_sdwa v179, v139, v48 dst_sel:DWORD dst_unused:UNUSED_PAD src0_sel:DWORD src1_sel:WORD_1
	v_mul_f16_sdwa v180, v71, v48 dst_sel:DWORD dst_unused:UNUSED_PAD src0_sel:DWORD src1_sel:WORD_1
	v_mul_f16_sdwa v181, v141, v49 dst_sel:DWORD dst_unused:UNUSED_PAD src0_sel:DWORD src1_sel:WORD_1
	v_mul_f16_sdwa v182, v149, v49 dst_sel:DWORD dst_unused:UNUSED_PAD src0_sel:DWORD src1_sel:WORD_1
	;; [unrolled: 5-line block ×5, first 2 shown]
	v_fma_f16 v145, v145, v50, -v175
	v_fmac_f16_e32 v176, v73, v50
	v_fma_f16 v73, v147, v51, -v177
	s_waitcnt vmcnt(1)
	v_mul_f16_sdwa v195, v171, v44 dst_sel:DWORD dst_unused:UNUSED_PAD src0_sel:DWORD src1_sel:WORD_1
	v_mul_f16_sdwa v196, v154, v44 dst_sel:DWORD dst_unused:UNUSED_PAD src0_sel:DWORD src1_sel:WORD_1
	;; [unrolled: 1-line block ×4, first 2 shown]
	s_waitcnt vmcnt(0)
	v_mul_f16_sdwa v199, v173, v40 dst_sel:DWORD dst_unused:UNUSED_PAD src0_sel:DWORD src1_sel:WORD_1
	v_mul_f16_sdwa v200, v158, v40 dst_sel:DWORD dst_unused:UNUSED_PAD src0_sel:DWORD src1_sel:WORD_1
	;; [unrolled: 1-line block ×4, first 2 shown]
	v_fmac_f16_e32 v178, v135, v51
	v_fma_f16 v71, v71, v48, -v179
	v_fmac_f16_e32 v180, v139, v48
	v_fma_f16 v135, v149, v49, -v181
	;; [unrolled: 2-line block ×7, first 2 shown]
	v_fmac_f16_e32 v192, v168, v38
	v_fmac_f16_e32 v194, v169, v39
	v_fma_f16 v150, v154, v44, -v195
	v_fmac_f16_e32 v196, v171, v44
	v_fma_f16 v65, v65, v45, -v197
	v_fmac_f16_e32 v198, v172, v45
	v_fma_f16 v149, v159, v39, -v193
	v_fma_f16 v153, v158, v40, -v199
	v_fmac_f16_e32 v200, v173, v40
	v_fma_f16 v154, v160, v41, -v201
	v_fmac_f16_e32 v202, v174, v41
	v_add_f16_e32 v158, v145, v73
	v_add_f16_e32 v162, v176, v178
	;; [unrolled: 1-line block ×10, first 2 shown]
	v_sub_f16_e32 v159, v176, v178
	v_sub_f16_e32 v166, v180, v182
	v_add_f16_e32 v171, v151, v139
	v_add_f16_e32 v174, v161, v184
	;; [unrolled: 1-line block ×6, first 2 shown]
	v_sub_f16_e32 v179, v188, v190
	v_add_f16_e32 v183, v155, v148
	v_add_f16_e32 v187, v167, v192
	;; [unrolled: 1-line block ×7, first 2 shown]
	v_sub_f16_e32 v145, v145, v73
	v_sub_f16_e32 v71, v71, v135
	;; [unrolled: 1-line block ×4, first 2 shown]
	v_add_f16_e32 v184, v148, v149
	v_sub_f16_e32 v185, v192, v194
	v_sub_f16_e32 v192, v196, v198
	v_add_f16_e32 v196, v70, v153
	v_add_f16_e32 v197, v153, v154
	v_sub_f16_e32 v199, v200, v202
	v_add_f16_e32 v201, v133, v200
	v_add_f16_e32 v200, v200, v202
	v_fma_f16 v143, -0.5, v158, v143
	v_fmac_f16_e32 v67, -0.5, v162
	v_fmac_f16_e32 v144, -0.5, v165
	;; [unrolled: 1-line block ×3, first 2 shown]
	v_fma_f16 v151, -0.5, v172, v151
	v_fmac_f16_e32 v161, -0.5, v175
	v_add_f16_e32 v73, v157, v73
	v_add_f16_e32 v157, v160, v178
	;; [unrolled: 1-line block ×4, first 2 shown]
	v_sub_f16_e32 v146, v146, v147
	v_add_f16_e32 v141, v171, v141
	v_add_f16_e32 v160, v174, v186
	;; [unrolled: 1-line block ×3, first 2 shown]
	v_fmac_f16_e32 v152, -0.5, v177
	v_add_f16_e32 v162, v180, v190
	v_fmac_f16_e32 v164, -0.5, v181
	v_sub_f16_e32 v148, v148, v149
	v_sub_f16_e32 v150, v150, v65
	v_add_f16_e32 v149, v183, v149
	v_add_f16_e32 v163, v187, v194
	v_fmac_f16_e32 v167, -0.5, v188
	v_add_f16_e32 v65, v189, v65
	v_fmac_f16_e32 v156, -0.5, v191
	;; [unrolled: 2-line block ×3, first 2 shown]
	v_sub_f16_e32 v153, v153, v154
	v_fma_f16 v155, -0.5, v184, v155
	v_add_f16_e32 v154, v196, v154
	v_fmac_f16_e32 v70, -0.5, v197
	v_add_f16_e32 v168, v201, v202
	v_fmac_f16_e32 v133, -0.5, v200
	v_fmamk_f16 v169, v159, 0x3aee, v143
	v_fmac_f16_e32 v143, 0xbaee, v159
	v_fmamk_f16 v159, v145, 0xbaee, v67
	v_fmac_f16_e32 v67, 0x3aee, v145
	v_fmamk_f16 v145, v166, 0x3aee, v144
	v_fmac_f16_e32 v144, 0xbaee, v166
	v_fmamk_f16 v166, v71, 0xbaee, v137
	v_fmac_f16_e32 v137, 0x3aee, v71
	v_fmamk_f16 v71, v173, 0x3aee, v151
	v_fmamk_f16 v171, v139, 0xbaee, v161
	v_fmac_f16_e32 v151, 0xbaee, v173
	v_fmac_f16_e32 v161, 0x3aee, v139
	v_pack_b32_f16 v73, v73, v157
	v_pack_b32_f16 v135, v135, v158
	v_fmamk_f16 v139, v179, 0x3aee, v152
	v_fmac_f16_e32 v152, 0xbaee, v179
	v_fmamk_f16 v172, v146, 0xbaee, v164
	v_fmac_f16_e32 v164, 0x3aee, v146
	v_pack_b32_f16 v141, v141, v160
	v_pack_b32_f16 v147, v147, v162
	v_fmamk_f16 v173, v148, 0xbaee, v167
	v_fmac_f16_e32 v167, 0x3aee, v148
	v_fmamk_f16 v148, v192, 0x3aee, v156
	v_fmamk_f16 v174, v150, 0xbaee, v170
	v_pack_b32_f16 v149, v149, v163
	v_pack_b32_f16 v65, v65, v165
	v_fmac_f16_e32 v156, 0xbaee, v192
	v_fmac_f16_e32 v170, 0x3aee, v150
	v_fmamk_f16 v146, v185, 0x3aee, v155
	v_fmac_f16_e32 v155, 0xbaee, v185
	v_fmamk_f16 v150, v199, 0x3aee, v70
	;; [unrolled: 2-line block ×3, first 2 shown]
	v_fmac_f16_e32 v133, 0x3aee, v153
	v_pack_b32_f16 v153, v154, v168
	v_pack_b32_f16 v154, v169, v159
	;; [unrolled: 1-line block ×4, first 2 shown]
	ds_write2st64_b32 v76, v73, v135 offset1:8
	v_pack_b32_f16 v135, v144, v137
	v_pack_b32_f16 v137, v151, v161
	ds_write2st64_b32 v76, v141, v147 offset0:16 offset1:24
	v_pack_b32_f16 v141, v152, v164
	v_pack_b32_f16 v139, v139, v172
	ds_write2st64_b32 v76, v149, v65 offset0:32 offset1:40
	v_pack_b32_f16 v65, v148, v174
	v_pack_b32_f16 v73, v145, v166
	;; [unrolled: 1-line block ×7, first 2 shown]
	ds_write2st64_b32 v76, v154, v71 offset0:56 offset1:72
	ds_write2st64_b32 v76, v67, v137 offset0:112 offset1:128
	;; [unrolled: 1-line block ×4, first 2 shown]
	ds_write_b32 v76, v145 offset:38912
	ds_write2st64_b32 v76, v153, v73 offset0:48 offset1:64
	ds_write2st64_b32 v76, v143, v146 offset0:88 offset1:104
	;; [unrolled: 1-line block ×3, first 2 shown]
	v_add_co_ci_u32_e64 v65, s2, 0, v131, s2
	s_waitcnt lgkmcnt(0)
	s_barrier
	buffer_gl0_inv
	s_clause 0x2
	global_load_dword v144, v76, s[26:27]
	global_load_dword v145, v[56:57], off offset:512
	global_load_dword v146, v[54:55], off offset:1024
	v_add_co_ci_u32_e64 v67, s2, 0, v131, s3
	s_clause 0x1
	global_load_dword v147, v[23:24], off offset:1536
	global_load_dword v148, v69, s[26:27]
	v_add_co_ci_u32_e64 v69, s2, 0, v131, s4
	v_add_co_ci_u32_e64 v73, s2, 0, v131, s5
	;; [unrolled: 1-line block ×4, first 2 shown]
	s_clause 0x1
	global_load_dword v149, v[58:59], off offset:512
	global_load_dword v150, v[60:61], off offset:1024
	v_add_co_ci_u32_e64 v135, s2, 0, v131, s12
	v_add_co_ci_u32_e64 v141, s2, 0, v131, s15
	;; [unrolled: 1-line block ×3, first 2 shown]
	s_clause 0xc
	global_load_dword v151, v[62:63], off offset:1536
	global_load_dword v132, v132, s[26:27]
	global_load_dword v152, v[64:65], off offset:512
	global_load_dword v153, v[66:67], off offset:1024
	global_load_dword v154, v[68:69], off offset:1536
	global_load_dword v101, v101, s[26:27]
	global_load_dword v73, v[72:73], off offset:512
	global_load_dword v155, v[134:135], off offset:1024
	;; [unrolled: 4-line block ×3, first 2 shown]
	global_load_dword v140, v[142:143], off offset:1536
	ds_read2st64_b32 v[56:57], v76 offset1:8
	ds_read2st64_b32 v[58:59], v76 offset0:32 offset1:42
	ds_read2st64_b32 v[60:61], v76 offset0:84 offset1:92
	;; [unrolled: 1-line block ×9, first 2 shown]
	s_waitcnt lgkmcnt(9)
	v_lshrrev_b32_e32 v141, 16, v56
	v_lshrrev_b32_e32 v158, 16, v57
	s_waitcnt lgkmcnt(7)
	v_lshrrev_b32_e32 v143, 16, v60
	v_lshrrev_b32_e32 v160, 16, v61
	s_waitcnt lgkmcnt(5)
	v_lshrrev_b32_e32 v159, 16, v64
	v_lshrrev_b32_e32 v163, 16, v65
	s_waitcnt lgkmcnt(4)
	v_lshrrev_b32_e32 v161, 16, v66
	v_lshrrev_b32_e32 v165, 16, v67
	s_waitcnt lgkmcnt(3)
	v_lshrrev_b32_e32 v162, 16, v68
	v_lshrrev_b32_e32 v166, 16, v69
	v_lshrrev_b32_e32 v142, 16, v59
	v_lshrrev_b32_e32 v157, 16, v63
	s_waitcnt lgkmcnt(2)
	v_lshrrev_b32_e32 v164, 16, v71
	s_waitcnt lgkmcnt(1)
	v_lshrrev_b32_e32 v167, 16, v134
	v_lshrrev_b32_e32 v168, 16, v72
	s_waitcnt lgkmcnt(0)
	v_lshrrev_b32_e32 v169, 16, v136
	v_lshrrev_b32_e32 v170, 16, v58
	;; [unrolled: 1-line block ×5, first 2 shown]
	s_waitcnt vmcnt(19)
	v_mul_f16_sdwa v174, v141, v144 dst_sel:DWORD dst_unused:UNUSED_PAD src0_sel:DWORD src1_sel:WORD_1
	v_mul_f16_sdwa v175, v56, v144 dst_sel:DWORD dst_unused:UNUSED_PAD src0_sel:DWORD src1_sel:WORD_1
	s_waitcnt vmcnt(17)
	v_mul_f16_sdwa v178, v143, v146 dst_sel:DWORD dst_unused:UNUSED_PAD src0_sel:DWORD src1_sel:WORD_1
	v_mul_f16_sdwa v179, v60, v146 dst_sel:DWORD dst_unused:UNUSED_PAD src0_sel:DWORD src1_sel:WORD_1
	;; [unrolled: 3-line block ×3, first 2 shown]
	v_mul_f16_sdwa v176, v142, v145 dst_sel:DWORD dst_unused:UNUSED_PAD src0_sel:DWORD src1_sel:WORD_1
	v_mul_f16_sdwa v177, v59, v145 dst_sel:DWORD dst_unused:UNUSED_PAD src0_sel:DWORD src1_sel:WORD_1
	;; [unrolled: 1-line block ×4, first 2 shown]
	v_fma_f16 v56, v56, v144, -v174
	v_fmac_f16_e32 v175, v141, v144
	s_waitcnt vmcnt(14)
	v_mul_f16_sdwa v184, v159, v149 dst_sel:DWORD dst_unused:UNUSED_PAD src0_sel:DWORD src1_sel:WORD_1
	s_waitcnt vmcnt(13)
	v_mul_f16_sdwa v186, v160, v150 dst_sel:DWORD dst_unused:UNUSED_PAD src0_sel:DWORD src1_sel:WORD_1
	v_mul_f16_sdwa v187, v61, v150 dst_sel:DWORD dst_unused:UNUSED_PAD src0_sel:DWORD src1_sel:WORD_1
	v_mul_f16_sdwa v185, v64, v149 dst_sel:DWORD dst_unused:UNUSED_PAD src0_sel:DWORD src1_sel:WORD_1
	v_fma_f16 v57, v57, v148, -v182
	v_fmac_f16_e32 v183, v158, v148
	v_fma_f16 v60, v60, v146, -v178
	s_waitcnt vmcnt(12)
	v_mul_f16_sdwa v188, v161, v151 dst_sel:DWORD dst_unused:UNUSED_PAD src0_sel:DWORD src1_sel:WORD_1
	s_waitcnt vmcnt(10)
	v_mul_f16_sdwa v192, v163, v152 dst_sel:DWORD dst_unused:UNUSED_PAD src0_sel:DWORD src1_sel:WORD_1
	v_mul_f16_sdwa v193, v65, v152 dst_sel:DWORD dst_unused:UNUSED_PAD src0_sel:DWORD src1_sel:WORD_1
	v_mul_f16_sdwa v189, v66, v151 dst_sel:DWORD dst_unused:UNUSED_PAD src0_sel:DWORD src1_sel:WORD_1
	s_waitcnt vmcnt(8)
	v_mul_f16_sdwa v196, v165, v154 dst_sel:DWORD dst_unused:UNUSED_PAD src0_sel:DWORD src1_sel:WORD_1
	v_mul_f16_sdwa v197, v67, v154 dst_sel:DWORD dst_unused:UNUSED_PAD src0_sel:DWORD src1_sel:WORD_1
	v_mul_f16_sdwa v190, v162, v132 dst_sel:DWORD dst_unused:UNUSED_PAD src0_sel:DWORD src1_sel:WORD_1
	v_mul_f16_sdwa v191, v68, v132 dst_sel:DWORD dst_unused:UNUSED_PAD src0_sel:DWORD src1_sel:WORD_1
	s_waitcnt vmcnt(7)
	v_mul_f16_sdwa v198, v166, v101 dst_sel:DWORD dst_unused:UNUSED_PAD src0_sel:DWORD src1_sel:WORD_1
	;; [unrolled: 5-line block ×3, first 2 shown]
	v_mul_f16_sdwa v201, v134, v73 dst_sel:DWORD dst_unused:UNUSED_PAD src0_sel:DWORD src1_sel:WORD_1
	s_waitcnt vmcnt(5)
	v_mul_f16_sdwa v202, v168, v155 dst_sel:DWORD dst_unused:UNUSED_PAD src0_sel:DWORD src1_sel:WORD_1
	v_mul_f16_sdwa v203, v72, v155 dst_sel:DWORD dst_unused:UNUSED_PAD src0_sel:DWORD src1_sel:WORD_1
	s_waitcnt vmcnt(4)
	v_mul_f16_sdwa v204, v169, v156 dst_sel:DWORD dst_unused:UNUSED_PAD src0_sel:DWORD src1_sel:WORD_1
	;; [unrolled: 3-line block ×6, first 2 shown]
	v_mul_f16_sdwa v213, v137, v140 dst_sel:DWORD dst_unused:UNUSED_PAD src0_sel:DWORD src1_sel:WORD_1
	v_fmac_f16_e32 v179, v143, v146
	v_fma_f16 v61, v61, v150, -v186
	v_fmac_f16_e32 v187, v160, v150
	v_fma_f16 v64, v64, v149, -v184
	;; [unrolled: 2-line block ×17, first 2 shown]
	v_fmac_f16_e32 v213, v173, v140
	v_pack_b32_f16 v56, v56, v175
	v_pack_b32_f16 v57, v57, v183
	;; [unrolled: 1-line block ×20, first 2 shown]
	ds_write2st64_b32 v76, v56, v57 offset1:8
	ds_write2st64_b32 v76, v60, v61 offset0:84 offset1:92
	ds_write2st64_b32 v76, v64, v65 offset0:50 offset1:58
	;; [unrolled: 1-line block ×9, first 2 shown]
	s_and_saveexec_b32 s3, vcc_lo
	s_cbranch_execz .LBB0_19
; %bb.18:
	s_clause 0x1
	global_load_dword v56, v77, s[26:27]
	global_load_dword v57, v[54:55], off offset:512
	v_add_co_u32 v54, s2, 0xa000, v21
	v_add_co_ci_u32_e64 v55, s2, 0, v131, s2
	s_clause 0x1
	global_load_dword v21, v[23:24], off offset:1024
	global_load_dword v58, v[54:55], off offset:1536
	ds_read2st64_b32 v[23:24], v76 offset0:40 offset1:82
	ds_read2st64_b32 v[54:55], v76 offset0:124 offset1:166
	s_waitcnt lgkmcnt(1)
	v_lshrrev_b32_e32 v59, 16, v23
	v_lshrrev_b32_e32 v60, 16, v24
	s_waitcnt lgkmcnt(0)
	v_lshrrev_b32_e32 v61, 16, v54
	v_lshrrev_b32_e32 v62, 16, v55
	s_waitcnt vmcnt(3)
	v_mul_f16_sdwa v63, v59, v56 dst_sel:DWORD dst_unused:UNUSED_PAD src0_sel:DWORD src1_sel:WORD_1
	v_mul_f16_sdwa v64, v23, v56 dst_sel:DWORD dst_unused:UNUSED_PAD src0_sel:DWORD src1_sel:WORD_1
	s_waitcnt vmcnt(2)
	v_mul_f16_sdwa v65, v60, v57 dst_sel:DWORD dst_unused:UNUSED_PAD src0_sel:DWORD src1_sel:WORD_1
	v_mul_f16_sdwa v66, v24, v57 dst_sel:DWORD dst_unused:UNUSED_PAD src0_sel:DWORD src1_sel:WORD_1
	v_fma_f16 v23, v23, v56, -v63
	v_fmac_f16_e32 v64, v59, v56
	s_waitcnt vmcnt(1)
	v_mul_f16_sdwa v67, v61, v21 dst_sel:DWORD dst_unused:UNUSED_PAD src0_sel:DWORD src1_sel:WORD_1
	v_mul_f16_sdwa v68, v54, v21 dst_sel:DWORD dst_unused:UNUSED_PAD src0_sel:DWORD src1_sel:WORD_1
	s_waitcnt vmcnt(0)
	v_mul_f16_sdwa v56, v62, v58 dst_sel:DWORD dst_unused:UNUSED_PAD src0_sel:DWORD src1_sel:WORD_1
	v_mul_f16_sdwa v59, v55, v58 dst_sel:DWORD dst_unused:UNUSED_PAD src0_sel:DWORD src1_sel:WORD_1
	v_fma_f16 v24, v24, v57, -v65
	v_fmac_f16_e32 v66, v60, v57
	v_fma_f16 v54, v54, v21, -v67
	v_fmac_f16_e32 v68, v61, v21
	;; [unrolled: 2-line block ×3, first 2 shown]
	v_pack_b32_f16 v23, v23, v64
	v_pack_b32_f16 v24, v24, v66
	;; [unrolled: 1-line block ×4, first 2 shown]
	ds_write2st64_b32 v76, v23, v24 offset0:40 offset1:82
	ds_write2st64_b32 v76, v54, v21 offset0:124 offset1:166
.LBB0_19:
	s_or_b32 exec_lo, exec_lo, s3
	s_waitcnt lgkmcnt(0)
	s_barrier
	buffer_gl0_inv
	ds_read2st64_b32 v[60:61], v76 offset1:8
	ds_read2st64_b32 v[23:24], v76 offset0:32 offset1:42
	ds_read2st64_b32 v[71:72], v76 offset0:84 offset1:92
	ds_read2st64_b32 v[62:63], v76 offset0:116 offset1:126
	ds_read2st64_b32 v[58:59], v76 offset0:50 offset1:58
	ds_read2st64_b32 v[68:69], v76 offset0:134 offset1:142
	ds_read2st64_b32 v[54:55], v76 offset0:16 offset1:24
	ds_read2st64_b32 v[66:67], v76 offset0:100 offset1:108
	ds_read2st64_b32 v[56:57], v76 offset0:66 offset1:74
	ds_read2st64_b32 v[64:65], v76 offset0:150 offset1:158
	s_and_saveexec_b32 s2, vcc_lo
	s_cbranch_execz .LBB0_21
; %bb.20:
	ds_read2st64_b32 v[21:22], v76 offset0:40 offset1:82
	ds_read2st64_b32 v[52:53], v76 offset0:124 offset1:166
	s_waitcnt lgkmcnt(1)
	v_lshrrev_b32_e32 v133, 16, v21
	v_lshrrev_b32_e32 v129, 16, v22
	s_waitcnt lgkmcnt(0)
	v_lshrrev_b32_e32 v130, 16, v52
	v_lshrrev_b32_e32 v128, 16, v53
	v_mov_b32_e32 v70, v21
.LBB0_21:
	s_or_b32 exec_lo, exec_lo, s2
	s_waitcnt lgkmcnt(7)
	v_pk_add_f16 v21, v60, v71 neg_lo:[0,1] neg_hi:[0,1]
	s_waitcnt lgkmcnt(6)
	v_pk_add_f16 v71, v24, v63 neg_lo:[0,1] neg_hi:[0,1]
	;; [unrolled: 2-line block ×3, first 2 shown]
	v_pk_add_f16 v136, v55, v67 neg_lo:[0,1] neg_hi:[0,1]
	v_pk_add_f16 v73, v61, v72 neg_lo:[0,1] neg_hi:[0,1]
	v_lshrrev_b32_e32 v63, 16, v21
	v_pk_add_f16 v131, v59, v69 neg_lo:[0,1] neg_hi:[0,1]
	s_waitcnt lgkmcnt(0)
	v_pk_add_f16 v142, v56, v64 neg_lo:[0,1] neg_hi:[0,1]
	v_lshrrev_b32_e32 v64, 16, v136
	v_pk_add_f16 v101, v58, v68 neg_lo:[0,1] neg_hi:[0,1]
	v_sub_f16_e32 v134, v63, v71
	v_lshrrev_b32_e32 v66, 16, v73
	v_pk_add_f16 v62, v23, v62 neg_lo:[0,1] neg_hi:[0,1]
	v_sub_f16_e32 v147, v64, v142
	v_sub_f16_e32 v67, v70, v52
	v_fma_f16 v140, v63, 2.0, -v134
	v_lshrrev_b32_e32 v63, 16, v103
	v_sub_f16_e32 v138, v66, v101
	v_fma_f16 v150, v64, 2.0, -v147
	v_sub_f16_e32 v64, v22, v53
	v_lshrrev_b32_e32 v53, 16, v62
	v_sub_f16_e32 v144, v63, v131
	v_add_f16_sdwa v132, v21, v71 dst_sel:DWORD dst_unused:UNUSED_PAD src0_sel:DWORD src1_sel:WORD_1
	v_fma_f16 v143, v66, 2.0, -v138
	v_sub_f16_e32 v72, v133, v130
	v_fma_f16 v68, v70, 2.0, -v67
	v_fma_f16 v148, v63, 2.0, -v144
	v_pk_add_f16 v63, v57, v65 neg_lo:[0,1] neg_hi:[0,1]
	v_sub_f16_e32 v70, v129, v128
	v_fma_f16 v22, v22, 2.0, -v64
	v_fma_f16 v137, v21, 2.0, -v132
	v_sub_f16_e32 v64, v72, v64
	v_sub_f16_e32 v66, v53, v63
	v_pk_fma_f16 v21, v60, 2.0, v21 op_sel_hi:[1,0,1] neg_lo:[0,0,1] neg_hi:[0,0,1]
	v_sub_f16_e32 v52, v68, v22
	v_pk_fma_f16 v22, v24, 2.0, v71 op_sel_hi:[1,0,1] neg_lo:[0,0,1] neg_hi:[0,0,1]
	v_fma_f16 v128, v133, 2.0, -v72
	v_fma_f16 v69, v53, 2.0, -v66
	v_add_f16_e32 v53, v70, v67
	v_pk_fma_f16 v24, v58, 2.0, v101 op_sel_hi:[1,0,1] neg_lo:[0,0,1] neg_hi:[0,0,1]
	v_add_f16_sdwa v135, v73, v101 dst_sel:DWORD dst_unused:UNUSED_PAD src0_sel:DWORD src1_sel:WORD_1
	v_pk_fma_f16 v151, v23, 2.0, v62 op_sel_hi:[1,0,1] neg_lo:[0,0,1] neg_hi:[0,0,1]
	v_pk_fma_f16 v23, v57, 2.0, v63 op_sel_hi:[1,0,1] neg_lo:[0,0,1] neg_hi:[0,0,1]
	v_fma_f16 v60, v67, 2.0, -v53
	v_fma_f16 v67, v72, 2.0, -v64
	v_pk_add_f16 v72, v21, v22 neg_lo:[0,1] neg_hi:[0,1]
	v_pk_fma_f16 v22, v61, 2.0, v73 op_sel_hi:[1,0,1] neg_lo:[0,0,1] neg_hi:[0,0,1]
	v_fma_f16 v65, v129, 2.0, -v70
	v_add_f16_sdwa v141, v103, v131 dst_sel:DWORD dst_unused:UNUSED_PAD src0_sel:DWORD src1_sel:WORD_1
	v_add_f16_sdwa v146, v136, v142 dst_sel:DWORD dst_unused:UNUSED_PAD src0_sel:DWORD src1_sel:WORD_1
	v_pk_fma_f16 v70, v21, 2.0, v72 op_sel_hi:[1,0,1] neg_lo:[0,0,1] neg_hi:[0,0,1]
	v_pk_fma_f16 v21, v54, 2.0, v103 op_sel_hi:[1,0,1] neg_lo:[0,0,1] neg_hi:[0,0,1]
	;; [unrolled: 1-line block ×3, first 2 shown]
	v_pk_add_f16 v130, v22, v24 neg_lo:[0,1] neg_hi:[0,1]
	v_pk_fma_f16 v24, v55, 2.0, v136 op_sel_hi:[1,0,1] neg_lo:[0,0,1] neg_hi:[0,0,1]
	v_pk_fma_f16 v55, v56, 2.0, v142 op_sel_hi:[1,0,1] neg_lo:[0,0,1] neg_hi:[0,0,1]
	v_add_f16_sdwa v57, v62, v63 dst_sel:DWORD dst_unused:UNUSED_PAD src0_sel:DWORD src1_sel:WORD_1
	v_fma_f16 v139, v73, 2.0, -v135
	v_pk_add_f16 v23, v151, v23 neg_lo:[0,1] neg_hi:[0,1]
	v_sub_f16_e32 v65, v128, v65
	v_pack_b32_f16 v73, v132, v134
	v_pk_add_f16 v134, v21, v54 neg_lo:[0,1] neg_hi:[0,1]
	v_fma_f16 v145, v103, 2.0, -v141
	v_fma_f16 v149, v136, 2.0, -v146
	v_pack_b32_f16 v131, v135, v138
	v_pk_add_f16 v138, v24, v55 neg_lo:[0,1] neg_hi:[0,1]
	v_fma_f16 v63, v62, 2.0, -v57
	v_fma_f16 v62, v68, 2.0, -v52
	;; [unrolled: 1-line block ×3, first 2 shown]
	v_pack_b32_f16 v71, v137, v140
	v_pk_fma_f16 v132, v21, 2.0, v134 op_sel_hi:[1,0,1] neg_lo:[0,0,1] neg_hi:[0,0,1]
	v_pk_fma_f16 v21, v151, 2.0, v23 op_sel_hi:[1,0,1] neg_lo:[0,0,1] neg_hi:[0,0,1]
	;; [unrolled: 1-line block ×3, first 2 shown]
	v_pack_b32_f16 v129, v139, v143
	v_pack_b32_f16 v135, v141, v144
	;; [unrolled: 1-line block ×3, first 2 shown]
	v_pk_fma_f16 v136, v24, 2.0, v138 op_sel_hi:[1,0,1] neg_lo:[0,0,1] neg_hi:[0,0,1]
	v_pack_b32_f16 v139, v146, v147
	v_pack_b32_f16 v137, v149, v150
	;; [unrolled: 1-line block ×4, first 2 shown]
	s_barrier
	buffer_gl0_inv
	ds_write_b128 v102, v[70:73]
	ds_write_b128 v98, v[128:131]
	;; [unrolled: 1-line block ×5, first 2 shown]
	s_and_saveexec_b32 s2, vcc_lo
	s_cbranch_execz .LBB0_23
; %bb.22:
	v_perm_b32 v73, v64, v53, 0x5040100
	v_perm_b32 v72, v65, v52, 0x5040100
	;; [unrolled: 1-line block ×4, first 2 shown]
	ds_write_b128 v105, v[70:73]
.LBB0_23:
	s_or_b32 exec_lo, exec_lo, s2
	s_waitcnt lgkmcnt(0)
	s_barrier
	buffer_gl0_inv
	ds_read_b32 v105, v76 offset:2688
	ds_read_b32 v104, v76 offset:5376
	;; [unrolled: 1-line block ×14, first 2 shown]
	ds_read_b32 v24, v76
	ds_read_b32 v54, v76 offset:40320
	v_lshrrev_b32_e32 v22, 16, v21
	s_and_saveexec_b32 s2, s0
	s_cbranch_execz .LBB0_25
; %bb.24:
	ds_read_b32 v21, v76 offset:2048
	ds_read_b32 v63, v76 offset:4736
	;; [unrolled: 1-line block ×16, first 2 shown]
	s_waitcnt lgkmcnt(15)
	v_lshrrev_b32_e32 v22, 16, v21
	s_waitcnt lgkmcnt(14)
	v_lshrrev_b32_e32 v69, 16, v63
	;; [unrolled: 2-line block ×15, first 2 shown]
.LBB0_25:
	s_or_b32 exec_lo, exec_lo, s2
	s_waitcnt lgkmcnt(15)
	v_lshrrev_b32_e32 v107, 16, v105
	s_waitcnt lgkmcnt(14)
	v_lshrrev_b32_e32 v128, 16, v104
	;; [unrolled: 2-line block ×3, first 2 shown]
	v_mul_f16_sdwa v141, v13, v105 dst_sel:DWORD dst_unused:UNUSED_PAD src0_sel:WORD_1 src1_sel:DWORD
	s_waitcnt lgkmcnt(12)
	v_lshrrev_b32_e32 v130, 16, v102
	v_mul_f16_sdwa v140, v13, v107 dst_sel:DWORD dst_unused:UNUSED_PAD src0_sel:WORD_1 src1_sel:DWORD
	v_mul_f16_sdwa v144, v14, v128 dst_sel:DWORD dst_unused:UNUSED_PAD src0_sel:WORD_1 src1_sel:DWORD
	s_waitcnt lgkmcnt(11)
	v_lshrrev_b32_e32 v131, 16, v101
	s_waitcnt lgkmcnt(10)
	v_lshrrev_b32_e32 v132, 16, v73
	v_mul_f16_sdwa v145, v16, v130 dst_sel:DWORD dst_unused:UNUSED_PAD src0_sel:WORD_1 src1_sel:DWORD
	v_fmac_f16_e32 v140, v13, v105
	v_fma_f16 v105, v13, v107, -v141
	v_mul_f16_sdwa v141, v15, v129 dst_sel:DWORD dst_unused:UNUSED_PAD src0_sel:WORD_1 src1_sel:DWORD
	v_mul_f16_sdwa v107, v14, v104 dst_sel:DWORD dst_unused:UNUSED_PAD src0_sel:WORD_1 src1_sel:DWORD
	v_fmac_f16_e32 v144, v14, v104
	v_mul_f16_sdwa v104, v15, v103 dst_sel:DWORD dst_unused:UNUSED_PAD src0_sel:WORD_1 src1_sel:DWORD
	s_waitcnt lgkmcnt(9)
	v_lshrrev_b32_e32 v133, 16, v72
	v_fmac_f16_e32 v141, v15, v103
	v_mul_f16_sdwa v103, v16, v102 dst_sel:DWORD dst_unused:UNUSED_PAD src0_sel:WORD_1 src1_sel:DWORD
	s_waitcnt lgkmcnt(8)
	v_lshrrev_b32_e32 v134, 16, v71
	s_waitcnt lgkmcnt(7)
	v_lshrrev_b32_e32 v135, 16, v70
	v_fma_f16 v107, v14, v128, -v107
	v_fma_f16 v104, v15, v129, -v104
	v_fmac_f16_e32 v145, v16, v102
	v_mul_f16_sdwa v102, v9, v131 dst_sel:DWORD dst_unused:UNUSED_PAD src0_sel:WORD_1 src1_sel:DWORD
	v_mul_f16_sdwa v128, v9, v101 dst_sel:DWORD dst_unused:UNUSED_PAD src0_sel:WORD_1 src1_sel:DWORD
	v_fma_f16 v103, v16, v130, -v103
	v_mul_f16_sdwa v129, v10, v132 dst_sel:DWORD dst_unused:UNUSED_PAD src0_sel:WORD_1 src1_sel:DWORD
	v_mul_f16_sdwa v130, v10, v73 dst_sel:DWORD dst_unused:UNUSED_PAD src0_sel:WORD_1 src1_sel:DWORD
	s_waitcnt lgkmcnt(6)
	v_lshrrev_b32_e32 v136, 16, v61
	v_fmac_f16_e32 v102, v9, v101
	v_fma_f16 v101, v9, v131, -v128
	v_mul_f16_sdwa v128, v11, v133 dst_sel:DWORD dst_unused:UNUSED_PAD src0_sel:WORD_1 src1_sel:DWORD
	v_fmac_f16_e32 v129, v10, v73
	v_fma_f16 v73, v10, v132, -v130
	v_mul_f16_sdwa v130, v11, v72 dst_sel:DWORD dst_unused:UNUSED_PAD src0_sel:WORD_1 src1_sel:DWORD
	v_mul_f16_sdwa v131, v12, v134 dst_sel:DWORD dst_unused:UNUSED_PAD src0_sel:WORD_1 src1_sel:DWORD
	;; [unrolled: 1-line block ×3, first 2 shown]
	s_waitcnt lgkmcnt(5)
	v_lshrrev_b32_e32 v137, 16, v59
	s_waitcnt lgkmcnt(4)
	v_lshrrev_b32_e32 v138, 16, v58
	;; [unrolled: 2-line block ×3, first 2 shown]
	v_fmac_f16_e32 v128, v11, v72
	v_mul_f16_sdwa v72, v12, v71 dst_sel:DWORD dst_unused:UNUSED_PAD src0_sel:WORD_1 src1_sel:DWORD
	v_fma_f16 v130, v11, v133, -v130
	v_fmac_f16_e32 v131, v12, v71
	v_mul_f16_sdwa v71, v5, v70 dst_sel:DWORD dst_unused:UNUSED_PAD src0_sel:WORD_1 src1_sel:DWORD
	v_fmac_f16_e32 v132, v5, v70
	v_mul_f16_sdwa v70, v6, v136 dst_sel:DWORD dst_unused:UNUSED_PAD src0_sel:WORD_1 src1_sel:DWORD
	v_mul_f16_sdwa v133, v6, v61 dst_sel:DWORD dst_unused:UNUSED_PAD src0_sel:WORD_1 src1_sel:DWORD
	s_waitcnt lgkmcnt(2)
	v_lshrrev_b32_e32 v142, 16, v55
	v_fma_f16 v72, v12, v134, -v72
	v_fma_f16 v71, v5, v135, -v71
	v_mul_f16_sdwa v134, v7, v137 dst_sel:DWORD dst_unused:UNUSED_PAD src0_sel:WORD_1 src1_sel:DWORD
	v_mul_f16_sdwa v135, v7, v59 dst_sel:DWORD dst_unused:UNUSED_PAD src0_sel:WORD_1 src1_sel:DWORD
	v_fmac_f16_e32 v70, v6, v61
	v_fma_f16 v61, v6, v136, -v133
	v_mul_f16_sdwa v133, v8, v138 dst_sel:DWORD dst_unused:UNUSED_PAD src0_sel:WORD_1 src1_sel:DWORD
	v_mul_f16_sdwa v136, v28, v139 dst_sel:DWORD dst_unused:UNUSED_PAD src0_sel:WORD_1 src1_sel:DWORD
	s_waitcnt lgkmcnt(0)
	v_lshrrev_b32_e32 v143, 16, v54
	v_fmac_f16_e32 v134, v7, v59
	v_fma_f16 v59, v7, v137, -v135
	v_mul_f16_sdwa v135, v8, v58 dst_sel:DWORD dst_unused:UNUSED_PAD src0_sel:WORD_1 src1_sel:DWORD
	v_fmac_f16_e32 v133, v8, v58
	v_mul_f16_sdwa v58, v28, v56 dst_sel:DWORD dst_unused:UNUSED_PAD src0_sel:WORD_1 src1_sel:DWORD
	v_mul_f16_sdwa v137, v29, v142 dst_sel:DWORD dst_unused:UNUSED_PAD src0_sel:WORD_1 src1_sel:DWORD
	v_fmac_f16_e32 v136, v28, v56
	v_mul_f16_sdwa v56, v29, v55 dst_sel:DWORD dst_unused:UNUSED_PAD src0_sel:WORD_1 src1_sel:DWORD
	v_fma_f16 v135, v8, v138, -v135
	v_fma_f16 v58, v28, v139, -v58
	v_fmac_f16_e32 v137, v29, v55
	v_mul_f16_sdwa v55, v30, v143 dst_sel:DWORD dst_unused:UNUSED_PAD src0_sel:WORD_1 src1_sel:DWORD
	v_mul_f16_sdwa v138, v30, v54 dst_sel:DWORD dst_unused:UNUSED_PAD src0_sel:WORD_1 src1_sel:DWORD
	v_fma_f16 v56, v29, v142, -v56
	v_lshrrev_b32_e32 v139, 16, v23
	v_mul_f16_sdwa v142, v13, v69 dst_sel:DWORD dst_unused:UNUSED_PAD src0_sel:WORD_1 src1_sel:DWORD
	v_fmac_f16_e32 v55, v30, v54
	v_fma_f16 v54, v30, v143, -v138
	v_mul_f16_sdwa v138, v13, v63 dst_sel:DWORD dst_unused:UNUSED_PAD src0_sel:WORD_1 src1_sel:DWORD
	v_mul_f16_sdwa v143, v14, v139 dst_sel:DWORD dst_unused:UNUSED_PAD src0_sel:WORD_1 src1_sel:DWORD
	v_fmac_f16_e32 v142, v13, v63
	v_mul_f16_sdwa v63, v14, v23 dst_sel:DWORD dst_unused:UNUSED_PAD src0_sel:WORD_1 src1_sel:DWORD
	v_mul_f16_sdwa v146, v15, v66 dst_sel:DWORD dst_unused:UNUSED_PAD src0_sel:WORD_1 src1_sel:DWORD
	v_lshrrev_b32_e32 v106, 16, v24
	v_fmac_f16_e32 v143, v14, v23
	v_mul_f16_sdwa v23, v15, v57 dst_sel:DWORD dst_unused:UNUSED_PAD src0_sel:WORD_1 src1_sel:DWORD
	v_fma_f16 v14, v14, v139, -v63
	v_fmac_f16_e32 v146, v15, v57
	v_mul_f16_sdwa v57, v16, v68 dst_sel:DWORD dst_unused:UNUSED_PAD src0_sel:WORD_1 src1_sel:DWORD
	v_mul_f16_sdwa v63, v16, v62 dst_sel:DWORD dst_unused:UNUSED_PAD src0_sel:WORD_1 src1_sel:DWORD
	v_fma_f16 v15, v15, v66, -v23
	v_mul_f16_sdwa v23, v9, v67 dst_sel:DWORD dst_unused:UNUSED_PAD src0_sel:WORD_1 src1_sel:DWORD
	v_mul_f16_sdwa v66, v9, v60 dst_sel:DWORD dst_unused:UNUSED_PAD src0_sel:WORD_1 src1_sel:DWORD
	v_fmac_f16_e32 v57, v16, v62
	v_fma_f16 v16, v16, v68, -v63
	v_mul_f16_sdwa v62, v10, v65 dst_sel:DWORD dst_unused:UNUSED_PAD src0_sel:WORD_1 src1_sel:DWORD
	v_mul_f16_sdwa v63, v11, v64 dst_sel:DWORD dst_unused:UNUSED_PAD src0_sel:WORD_1 src1_sel:DWORD
	v_fmac_f16_e32 v23, v9, v60
	v_fma_f16 v9, v9, v67, -v66
	v_mul_f16_sdwa v60, v10, v52 dst_sel:DWORD dst_unused:UNUSED_PAD src0_sel:WORD_1 src1_sel:DWORD
	v_fmac_f16_e32 v62, v10, v52
	v_mul_f16_sdwa v52, v11, v53 dst_sel:DWORD dst_unused:UNUSED_PAD src0_sel:WORD_1 src1_sel:DWORD
	v_mul_f16_sdwa v66, v12, v119 dst_sel:DWORD dst_unused:UNUSED_PAD src0_sel:WORD_1 src1_sel:DWORD
	v_fmac_f16_e32 v63, v11, v53
	v_mul_f16_sdwa v53, v12, v113 dst_sel:DWORD dst_unused:UNUSED_PAD src0_sel:WORD_1 src1_sel:DWORD
	v_fma_f16 v10, v10, v65, -v60
	v_fma_f16 v11, v11, v64, -v52
	v_fmac_f16_e32 v66, v12, v113
	v_mul_f16_sdwa v52, v5, v118 dst_sel:DWORD dst_unused:UNUSED_PAD src0_sel:WORD_1 src1_sel:DWORD
	v_mul_f16_sdwa v60, v5, v112 dst_sel:DWORD dst_unused:UNUSED_PAD src0_sel:WORD_1 src1_sel:DWORD
	v_fma_f16 v12, v12, v119, -v53
	v_mul_f16_sdwa v53, v6, v121 dst_sel:DWORD dst_unused:UNUSED_PAD src0_sel:WORD_1 src1_sel:DWORD
	v_mul_f16_sdwa v64, v6, v114 dst_sel:DWORD dst_unused:UNUSED_PAD src0_sel:WORD_1 src1_sel:DWORD
	v_fmac_f16_e32 v52, v5, v112
	v_fma_f16 v5, v5, v118, -v60
	v_mul_f16_sdwa v60, v7, v122 dst_sel:DWORD dst_unused:UNUSED_PAD src0_sel:WORD_1 src1_sel:DWORD
	v_fmac_f16_e32 v53, v6, v114
	v_fma_f16 v6, v6, v121, -v64
	v_mul_f16_sdwa v64, v7, v115 dst_sel:DWORD dst_unused:UNUSED_PAD src0_sel:WORD_1 src1_sel:DWORD
	v_mul_f16_sdwa v65, v8, v125 dst_sel:DWORD dst_unused:UNUSED_PAD src0_sel:WORD_1 src1_sel:DWORD
	v_fmac_f16_e32 v60, v7, v115
	v_mul_f16_sdwa v67, v8, v117 dst_sel:DWORD dst_unused:UNUSED_PAD src0_sel:WORD_1 src1_sel:DWORD
	v_mul_f16_sdwa v68, v28, v124 dst_sel:DWORD dst_unused:UNUSED_PAD src0_sel:WORD_1 src1_sel:DWORD
	v_fma_f16 v7, v7, v122, -v64
	v_mul_f16_sdwa v64, v28, v116 dst_sel:DWORD dst_unused:UNUSED_PAD src0_sel:WORD_1 src1_sel:DWORD
	v_fma_f16 v13, v13, v69, -v138
	v_fmac_f16_e32 v65, v8, v117
	v_fma_f16 v8, v8, v125, -v67
	v_fmac_f16_e32 v68, v28, v116
	v_mul_f16_sdwa v67, v29, v126 dst_sel:DWORD dst_unused:UNUSED_PAD src0_sel:WORD_1 src1_sel:DWORD
	v_mul_f16_sdwa v69, v29, v120 dst_sel:DWORD dst_unused:UNUSED_PAD src0_sel:WORD_1 src1_sel:DWORD
	v_fma_f16 v28, v28, v124, -v64
	v_mul_f16_sdwa v64, v30, v127 dst_sel:DWORD dst_unused:UNUSED_PAD src0_sel:WORD_1 src1_sel:DWORD
	v_mul_f16_sdwa v112, v30, v123 dst_sel:DWORD dst_unused:UNUSED_PAD src0_sel:WORD_1 src1_sel:DWORD
	v_sub_f16_e32 v72, v106, v72
	v_sub_f16_e32 v113, v103, v135
	;; [unrolled: 1-line block ×4, first 2 shown]
	v_fmac_f16_e32 v67, v29, v120
	v_fma_f16 v29, v29, v126, -v69
	v_sub_f16_e32 v69, v24, v131
	v_fmac_f16_e32 v64, v30, v123
	v_fma_f16 v30, v30, v127, -v112
	v_sub_f16_e32 v112, v145, v133
	v_sub_f16_e32 v70, v144, v70
	v_fma_f16 v106, v106, 2.0, -v72
	v_fma_f16 v103, v103, 2.0, -v113
	v_sub_f16_e32 v116, v129, v137
	v_fma_f16 v107, v107, 2.0, -v61
	v_fma_f16 v73, v73, 2.0, -v56
	;; [unrolled: 1-line block ×3, first 2 shown]
	v_sub_f16_e32 v117, v140, v132
	v_fma_f16 v118, v129, 2.0, -v116
	v_sub_f16_e32 v119, v102, v136
	v_sub_f16_e32 v121, v141, v134
	;; [unrolled: 1-line block ×4, first 2 shown]
	v_add_f16_e32 v113, v69, v113
	v_sub_f16_e32 v112, v72, v112
	v_sub_f16_e32 v73, v107, v73
	v_add_f16_e32 v56, v70, v56
	v_sub_f16_e32 v116, v61, v116
	v_fma_f16 v24, v24, 2.0, -v69
	v_fma_f16 v115, v144, 2.0, -v70
	v_sub_f16_e32 v71, v105, v71
	v_fma_f16 v120, v140, 2.0, -v117
	v_sub_f16_e32 v58, v101, v58
	;; [unrolled: 2-line block ×4, first 2 shown]
	v_fma_f16 v123, v128, 2.0, -v55
	v_fma_f16 v106, v106, 2.0, -v103
	v_fma_f16 v69, v69, 2.0, -v113
	v_fma_f16 v72, v72, 2.0, -v112
	v_fma_f16 v107, v107, 2.0, -v73
	v_fma_f16 v70, v70, 2.0, -v56
	v_fma_f16 v61, v61, 2.0, -v116
	v_fma_f16 v101, v101, 2.0, -v58
	v_fma_f16 v124, v130, 2.0, -v54
	v_sub_f16_e32 v118, v115, v118
	v_sub_f16_e32 v102, v120, v102
	v_add_f16_e32 v58, v117, v58
	v_sub_f16_e32 v119, v71, v119
	v_sub_f16_e32 v123, v122, v123
	v_add_f16_e32 v54, v121, v54
	v_sub_f16_e32 v55, v59, v55
	v_fmamk_f16 v125, v70, 0xb9a8, v69
	v_sub_f16_e32 v107, v106, v107
	v_fmamk_f16 v126, v61, 0xb9a8, v72
	v_fma_f16 v105, v105, 2.0, -v71
	v_fma_f16 v104, v104, 2.0, -v59
	v_sub_f16_e32 v114, v24, v114
	v_fma_f16 v115, v115, 2.0, -v118
	v_fma_f16 v120, v120, 2.0, -v102
	v_fma_f16 v117, v117, 2.0, -v58
	v_fma_f16 v71, v71, 2.0, -v119
	v_fma_f16 v122, v122, 2.0, -v123
	v_fma_f16 v121, v121, 2.0, -v54
	v_fmac_f16_e32 v125, 0x39a8, v61
	v_fma_f16 v59, v59, 2.0, -v55
	v_fma_f16 v61, v106, 2.0, -v107
	v_fmac_f16_e32 v126, 0xb9a8, v70
	v_fmamk_f16 v70, v56, 0x39a8, v113
	v_sub_f16_e32 v106, v103, v118
	v_fmamk_f16 v118, v116, 0x39a8, v112
	v_fma_f16 v24, v24, 2.0, -v114
	v_sub_f16_e32 v124, v104, v124
	v_fmac_f16_e32 v70, 0x39a8, v116
	v_sub_f16_e32 v116, v120, v122
	v_fmac_f16_e32 v118, 0xb9a8, v56
	v_fmamk_f16 v56, v121, 0xb9a8, v117
	v_fmamk_f16 v122, v59, 0xb9a8, v71
	v_sub_f16_e32 v101, v105, v101
	v_fma_f16 v104, v104, 2.0, -v124
	v_sub_f16_e32 v115, v24, v115
	v_add_f16_e32 v73, v114, v73
	v_fmac_f16_e32 v56, 0x39a8, v59
	v_fma_f16 v59, v112, 2.0, -v118
	v_fma_f16 v112, v120, 2.0, -v116
	v_fmac_f16_e32 v122, 0xb9a8, v121
	v_fmamk_f16 v120, v54, 0x39a8, v58
	v_add_f16_e32 v121, v102, v124
	v_fmamk_f16 v124, v55, 0x39a8, v119
	v_fma_f16 v105, v105, 2.0, -v101
	v_fma_f16 v24, v24, 2.0, -v115
	;; [unrolled: 1-line block ×3, first 2 shown]
	v_sub_f16_e32 v123, v101, v123
	v_fmac_f16_e32 v120, 0x39a8, v55
	v_fma_f16 v55, v102, 2.0, -v121
	v_fmac_f16_e32 v124, 0xb9a8, v54
	v_fma_f16 v72, v72, 2.0, -v126
	v_fma_f16 v103, v103, 2.0, -v106
	v_sub_f16_e32 v104, v105, v104
	v_fma_f16 v71, v71, 2.0, -v122
	v_fma_f16 v101, v101, 2.0, -v123
	v_sub_f16_e32 v102, v24, v112
	v_fma_f16 v112, v119, 2.0, -v124
	v_fmamk_f16 v128, v55, 0xb9a8, v114
	v_fma_f16 v69, v69, 2.0, -v125
	v_fma_f16 v113, v113, 2.0, -v70
	;; [unrolled: 1-line block ×5, first 2 shown]
	v_fmamk_f16 v127, v71, 0xbb64, v72
	v_fmamk_f16 v129, v101, 0xb9a8, v103
	v_fmac_f16_e32 v128, 0x39a8, v101
	v_fmamk_f16 v101, v112, 0xb61f, v59
	v_sub_f16_e32 v58, v61, v105
	v_fmamk_f16 v105, v117, 0xbb64, v69
	v_fmac_f16_e32 v127, 0xb61f, v117
	v_fmamk_f16 v117, v54, 0xb61f, v113
	v_fmac_f16_e32 v101, 0xbb64, v54
	v_sub_f16_e32 v54, v57, v65
	v_fmac_f16_e32 v129, 0xb9a8, v55
	v_sub_f16_e32 v12, v22, v12
	v_sub_f16_e32 v6, v14, v6
	v_fma_f16 v119, v24, 2.0, -v102
	v_fma_f16 v55, v57, 2.0, -v54
	v_sub_f16_e32 v57, v62, v67
	v_sub_f16_e32 v24, v21, v66
	v_sub_f16_e32 v8, v16, v8
	v_sub_f16_e32 v53, v143, v53
	v_sub_f16_e32 v29, v10, v29
	v_fma_f16 v62, v62, 2.0, -v57
	v_sub_f16_e32 v54, v12, v54
	v_sub_f16_e32 v57, v6, v57
	v_fmamk_f16 v131, v122, 0x361f, v126
	v_fma_f16 v21, v21, 2.0, -v24
	v_fma_f16 v22, v22, 2.0, -v12
	;; [unrolled: 1-line block ×4, first 2 shown]
	v_sub_f16_e32 v52, v142, v52
	v_fma_f16 v10, v10, 2.0, -v29
	v_sub_f16_e32 v28, v9, v28
	v_sub_f16_e32 v60, v146, v60
	;; [unrolled: 1-line block ×3, first 2 shown]
	v_add_f16_e32 v8, v8, v24
	v_fma_f16 v12, v12, 2.0, -v54
	v_add_f16_e32 v29, v29, v53
	v_fma_f16 v6, v6, 2.0, -v57
	v_fmac_f16_e32 v105, 0x361f, v71
	v_fmac_f16_e32 v117, 0x3b64, v112
	v_fma_f16 v112, v114, 2.0, -v128
	v_fmamk_f16 v114, v56, 0x361f, v125
	v_fmac_f16_e32 v131, 0xbb64, v56
	v_fmamk_f16 v133, v120, 0x3b64, v70
	v_fma_f16 v56, v143, 2.0, -v53
	v_sub_f16_e32 v5, v13, v5
	v_sub_f16_e32 v65, v23, v68
	;; [unrolled: 1-line block ×4, first 2 shown]
	v_fma_f16 v9, v9, 2.0, -v28
	v_sub_f16_e32 v55, v21, v55
	v_fma_f16 v11, v11, 2.0, -v30
	v_fma_f16 v24, v24, 2.0, -v8
	v_sub_f16_e32 v10, v14, v10
	v_fma_f16 v53, v53, 2.0, -v29
	v_add_f16_e32 v28, v28, v52
	v_add_f16_e32 v30, v30, v60
	v_fmamk_f16 v71, v6, 0xb9a8, v12
	v_fma_f16 v130, v69, 2.0, -v105
	v_fmamk_f16 v134, v124, 0x3b64, v118
	v_fmac_f16_e32 v133, 0x361f, v124
	v_fma_f16 v66, v142, 2.0, -v52
	v_fma_f16 v23, v23, 2.0, -v65
	;; [unrolled: 1-line block ×4, first 2 shown]
	v_sub_f16_e32 v65, v5, v65
	v_fma_f16 v52, v52, 2.0, -v28
	v_sub_f16_e32 v64, v7, v64
	v_fmamk_f16 v69, v53, 0xb9a8, v24
	v_fma_f16 v60, v60, 2.0, -v30
	v_fmac_f16_e32 v71, 0xb9a8, v53
	v_add_f16_e32 v124, v10, v55
	v_fma_f16 v13, v13, 2.0, -v5
	v_fma_f16 v15, v15, 2.0, -v7
	v_sub_f16_e32 v16, v22, v16
	v_fma_f16 v21, v21, 2.0, -v55
	v_sub_f16_e32 v62, v56, v62
	v_fma_f16 v14, v14, 2.0, -v10
	v_fma_f16 v5, v5, 2.0, -v65
	v_fmac_f16_e32 v69, 0x39a8, v6
	v_fma_f16 v6, v7, 2.0, -v64
	v_fma_f16 v10, v12, 2.0, -v71
	;; [unrolled: 1-line block ×3, first 2 shown]
	v_fmamk_f16 v55, v60, 0xb9a8, v52
	v_fmac_f16_e32 v114, 0x3b64, v122
	v_fmamk_f16 v122, v121, 0x39a8, v73
	v_fmamk_f16 v132, v123, 0x39a8, v106
	v_fma_f16 v22, v22, 2.0, -v16
	v_fma_f16 v56, v56, 2.0, -v62
	v_sub_f16_e32 v23, v66, v23
	v_sub_f16_e32 v9, v13, v9
	;; [unrolled: 1-line block ×4, first 2 shown]
	v_fmamk_f16 v135, v6, 0xb9a8, v5
	v_fmac_f16_e32 v55, 0x39a8, v6
	v_fmac_f16_e32 v122, 0x39a8, v123
	v_fmac_f16_e32 v132, 0xb9a8, v121
	v_fma_f16 v121, v126, 2.0, -v131
	v_fmac_f16_e32 v134, 0xb61f, v120
	v_fma_f16 v120, v70, 2.0, -v133
	v_fma_f16 v66, v66, 2.0, -v23
	;; [unrolled: 1-line block ×5, first 2 shown]
	v_sub_f16_e32 v56, v21, v56
	v_sub_f16_e32 v70, v22, v14
	v_fma_f16 v24, v24, 2.0, -v69
	v_fmamk_f16 v123, v29, 0x39a8, v8
	v_fmamk_f16 v126, v57, 0x39a8, v54
	v_fmac_f16_e32 v135, 0xb9a8, v60
	v_fma_f16 v52, v52, 2.0, -v55
	v_fmamk_f16 v136, v64, 0x39a8, v65
	v_fma_f16 v7, v21, 2.0, -v56
	v_fma_f16 v21, v22, 2.0, -v70
	v_fmac_f16_e32 v123, 0x39a8, v57
	v_fmac_f16_e32 v126, 0xb9a8, v29
	v_sub_f16_e32 v29, v66, v67
	v_sub_f16_e32 v57, v13, v15
	v_fmamk_f16 v60, v30, 0x39a8, v28
	v_fma_f16 v22, v5, 2.0, -v135
	v_fmac_f16_e32 v136, 0xb9a8, v30
	v_fmamk_f16 v15, v52, 0xbb64, v24
	v_sub_f16_e32 v62, v16, v62
	v_sub_f16_e32 v63, v9, v63
	v_fma_f16 v54, v54, 2.0, -v126
	v_fma_f16 v6, v66, 2.0, -v29
	v_fmac_f16_e32 v60, 0x39a8, v64
	v_fma_f16 v30, v65, 2.0, -v136
	v_fmac_f16_e32 v15, 0x361f, v22
	v_fma_f16 v53, v16, 2.0, -v62
	v_fma_f16 v14, v13, 2.0, -v57
	v_add_f16_e32 v11, v11, v23
	v_fma_f16 v9, v9, 2.0, -v63
	v_fma_f16 v8, v8, 2.0, -v123
	v_sub_f16_e32 v13, v7, v6
	v_fma_f16 v28, v28, 2.0, -v60
	v_fma_f16 v6, v24, 2.0, -v15
	v_fmamk_f16 v24, v30, 0xb61f, v54
	v_fma_f16 v66, v23, 2.0, -v11
	v_sub_f16_e32 v14, v21, v14
	v_fmamk_f16 v16, v22, 0xbb64, v10
	v_fmamk_f16 v22, v9, 0xb9a8, v53
	;; [unrolled: 1-line block ×3, first 2 shown]
	v_fmac_f16_e32 v24, 0xbb64, v28
	v_fma_f16 v64, v21, 2.0, -v14
	v_fmamk_f16 v21, v66, 0xb9a8, v12
	v_fmac_f16_e32 v16, 0xb61f, v52
	v_fmac_f16_e32 v22, 0xb9a8, v66
	v_add_f16_e32 v28, v56, v57
	v_fmamk_f16 v52, v135, 0x361f, v71
	v_add_f16_e32 v104, v115, v104
	v_sub_f16_e32 v116, v107, v116
	v_fmac_f16_e32 v23, 0x3b64, v30
	v_fmamk_f16 v30, v55, 0x361f, v69
	v_fma_f16 v68, v54, 2.0, -v24
	v_fmamk_f16 v54, v63, 0x39a8, v62
	v_fma_f16 v61, v61, 2.0, -v58
	v_fma_f16 v72, v72, 2.0, -v127
	v_fmac_f16_e32 v21, 0x39a8, v9
	v_fma_f16 v65, v53, 2.0, -v22
	v_fma_f16 v9, v56, 2.0, -v28
	v_fmac_f16_e32 v52, 0xbb64, v55
	v_fmamk_f16 v53, v11, 0x39a8, v124
	v_fmamk_f16 v55, v60, 0x3b64, v123
	;; [unrolled: 1-line block ×3, first 2 shown]
	v_fma_f16 v103, v103, 2.0, -v129
	v_fma_f16 v113, v113, 2.0, -v117
	;; [unrolled: 1-line block ×6, first 2 shown]
	v_fmac_f16_e32 v30, 0x3b64, v135
	v_fmac_f16_e32 v54, 0xb9a8, v11
	v_fma_f16 v73, v73, 2.0, -v122
	v_fma_f16 v106, v106, 2.0, -v132
	;; [unrolled: 1-line block ×3, first 2 shown]
	v_sub_f16_e32 v29, v70, v29
	v_fmac_f16_e32 v53, 0x39a8, v63
	v_fmac_f16_e32 v55, 0x361f, v136
	;; [unrolled: 1-line block ×3, first 2 shown]
	v_pack_b32_f16 v57, v119, v61
	v_pack_b32_f16 v60, v130, v72
	;; [unrolled: 1-line block ×4, first 2 shown]
	v_fma_f16 v67, v10, 2.0, -v16
	v_fma_f16 v10, v69, 2.0, -v30
	v_fma_f16 v69, v62, 2.0, -v54
	v_pack_b32_f16 v62, v115, v107
	v_pack_b32_f16 v63, v125, v121
	v_fma_f16 v5, v7, 2.0, -v13
	v_fma_f16 v7, v12, 2.0, -v21
	v_fma_f16 v8, v8, 2.0, -v23
	v_fma_f16 v66, v70, 2.0, -v29
	v_fma_f16 v70, v71, 2.0, -v52
	v_fma_f16 v11, v124, 2.0, -v53
	v_fma_f16 v12, v123, 2.0, -v55
	v_fma_f16 v71, v126, 2.0, -v56
	s_barrier
	buffer_gl0_inv
	ds_write2_b32 v109, v57, v60 offset1:4
	ds_write2_b32 v109, v61, v59 offset0:8 offset1:12
	ds_write2_b32 v109, v62, v63 offset0:16 offset1:20
	v_pack_b32_f16 v57, v73, v106
	v_pack_b32_f16 v59, v120, v118
	;; [unrolled: 1-line block ×10, first 2 shown]
	ds_write2_b32 v109, v57, v59 offset0:24 offset1:28
	ds_write2_b32 v109, v58, v60 offset0:32 offset1:36
	;; [unrolled: 1-line block ×5, first 2 shown]
	s_and_saveexec_b32 s2, s0
	s_cbranch_execz .LBB0_27
; %bb.26:
	v_and_or_b32 v57, 0x3fc0, v98, v99
	v_perm_b32 v58, v64, v5, 0x5040100
	v_perm_b32 v59, v67, v6, 0x5040100
	;; [unrolled: 1-line block ×4, first 2 shown]
	v_lshlrev_b32_e32 v57, 2, v57
	v_perm_b32 v62, v66, v9, 0x5040100
	v_perm_b32 v63, v70, v10, 0x5040100
	;; [unrolled: 1-line block ×4, first 2 shown]
	ds_write2_b32 v57, v58, v59 offset1:4
	ds_write2_b32 v57, v60, v61 offset0:8 offset1:12
	ds_write2_b32 v57, v62, v63 offset0:16 offset1:20
	v_perm_b32 v58, v69, v11, 0x5040100
	v_perm_b32 v59, v71, v12, 0x5040100
	;; [unrolled: 1-line block ×8, first 2 shown]
	ds_write2_b32 v57, v58, v59 offset0:24 offset1:28
	ds_write2_b32 v57, v13, v14 offset0:32 offset1:36
	ds_write2_b32 v57, v15, v16 offset0:40 offset1:44
	ds_write2_b32 v57, v21, v22 offset0:48 offset1:52
	ds_write2_b32 v57, v23, v24 offset0:56 offset1:60
.LBB0_27:
	s_or_b32 exec_lo, exec_lo, s2
	s_waitcnt lgkmcnt(0)
	s_barrier
	buffer_gl0_inv
	ds_read2st64_b32 v[13:14], v76 offset1:8
	ds_read2st64_b32 v[56:57], v76 offset0:21 offset1:29
	ds_read2st64_b32 v[54:55], v76 offset0:42 offset1:50
	;; [unrolled: 1-line block ×7, first 2 shown]
	s_and_saveexec_b32 s0, s1
	s_cbranch_execz .LBB0_29
; %bb.28:
	ds_read2st64_b32 v[5:6], v76 offset0:16 offset1:37
	ds_read2st64_b32 v[7:8], v76 offset0:58 offset1:79
	;; [unrolled: 1-line block ×4, first 2 shown]
	s_waitcnt lgkmcnt(3)
	v_lshrrev_b32_e32 v64, 16, v5
	v_lshrrev_b32_e32 v67, 16, v6
	s_waitcnt lgkmcnt(2)
	v_lshrrev_b32_e32 v65, 16, v7
	v_lshrrev_b32_e32 v68, 16, v8
	;; [unrolled: 3-line block ×4, first 2 shown]
.LBB0_29:
	s_or_b32 exec_lo, exec_lo, s0
	s_waitcnt lgkmcnt(6)
	v_lshrrev_b32_e32 v73, 16, v56
	s_waitcnt lgkmcnt(5)
	v_lshrrev_b32_e32 v98, 16, v54
	;; [unrolled: 2-line block ×3, first 2 shown]
	v_mul_f16_sdwa v115, v1, v56 dst_sel:DWORD dst_unused:UNUSED_PAD src0_sel:WORD_1 src1_sel:DWORD
	s_waitcnt lgkmcnt(3)
	v_lshrrev_b32_e32 v101, 16, v28
	v_mul_f16_sdwa v114, v1, v73 dst_sel:DWORD dst_unused:UNUSED_PAD src0_sel:WORD_1 src1_sel:DWORD
	v_mul_f16_sdwa v118, v2, v98 dst_sel:DWORD dst_unused:UNUSED_PAD src0_sel:WORD_1 src1_sel:DWORD
	s_waitcnt lgkmcnt(2)
	v_lshrrev_b32_e32 v102, 16, v23
	s_waitcnt lgkmcnt(1)
	v_lshrrev_b32_e32 v103, 16, v21
	v_mul_f16_sdwa v119, v4, v101 dst_sel:DWORD dst_unused:UNUSED_PAD src0_sel:WORD_1 src1_sel:DWORD
	v_fmac_f16_e32 v114, v1, v56
	v_fma_f16 v56, v1, v73, -v115
	v_mul_f16_sdwa v115, v3, v99 dst_sel:DWORD dst_unused:UNUSED_PAD src0_sel:WORD_1 src1_sel:DWORD
	v_mul_f16_sdwa v73, v2, v54 dst_sel:DWORD dst_unused:UNUSED_PAD src0_sel:WORD_1 src1_sel:DWORD
	v_fmac_f16_e32 v118, v2, v54
	v_mul_f16_sdwa v54, v3, v52 dst_sel:DWORD dst_unused:UNUSED_PAD src0_sel:WORD_1 src1_sel:DWORD
	s_waitcnt lgkmcnt(0)
	v_lshrrev_b32_e32 v104, 16, v15
	v_fmac_f16_e32 v115, v3, v52
	v_mul_f16_sdwa v52, v4, v28 dst_sel:DWORD dst_unused:UNUSED_PAD src0_sel:WORD_1 src1_sel:DWORD
	v_lshrrev_b32_e32 v106, 16, v57
	v_lshrrev_b32_e32 v107, 16, v55
	v_fma_f16 v73, v2, v98, -v73
	v_fma_f16 v54, v3, v99, -v54
	v_fmac_f16_e32 v119, v4, v28
	v_mul_f16_sdwa v28, v25, v102 dst_sel:DWORD dst_unused:UNUSED_PAD src0_sel:WORD_1 src1_sel:DWORD
	v_mul_f16_sdwa v98, v25, v23 dst_sel:DWORD dst_unused:UNUSED_PAD src0_sel:WORD_1 src1_sel:DWORD
	v_fma_f16 v52, v4, v101, -v52
	v_mul_f16_sdwa v99, v26, v103 dst_sel:DWORD dst_unused:UNUSED_PAD src0_sel:WORD_1 src1_sel:DWORD
	v_mul_f16_sdwa v101, v26, v21 dst_sel:DWORD dst_unused:UNUSED_PAD src0_sel:WORD_1 src1_sel:DWORD
	v_lshrrev_b32_e32 v109, 16, v53
	v_fmac_f16_e32 v28, v25, v23
	v_fma_f16 v23, v25, v102, -v98
	v_mul_f16_sdwa v98, v27, v104 dst_sel:DWORD dst_unused:UNUSED_PAD src0_sel:WORD_1 src1_sel:DWORD
	v_fmac_f16_e32 v99, v26, v21
	v_fma_f16 v21, v26, v103, -v101
	v_mul_f16_sdwa v101, v27, v15 dst_sel:DWORD dst_unused:UNUSED_PAD src0_sel:WORD_1 src1_sel:DWORD
	v_mul_f16_sdwa v102, v1, v106 dst_sel:DWORD dst_unused:UNUSED_PAD src0_sel:WORD_1 src1_sel:DWORD
	;; [unrolled: 1-line block ×3, first 2 shown]
	v_lshrrev_b32_e32 v72, 16, v13
	v_lshrrev_b32_e32 v112, 16, v29
	;; [unrolled: 1-line block ×4, first 2 shown]
	v_fmac_f16_e32 v98, v27, v15
	v_mul_f16_sdwa v15, v1, v57 dst_sel:DWORD dst_unused:UNUSED_PAD src0_sel:WORD_1 src1_sel:DWORD
	v_fma_f16 v101, v27, v104, -v101
	v_fmac_f16_e32 v102, v1, v57
	v_mul_f16_sdwa v57, v2, v55 dst_sel:DWORD dst_unused:UNUSED_PAD src0_sel:WORD_1 src1_sel:DWORD
	v_fmac_f16_e32 v103, v2, v55
	v_mul_f16_sdwa v55, v3, v109 dst_sel:DWORD dst_unused:UNUSED_PAD src0_sel:WORD_1 src1_sel:DWORD
	v_mul_f16_sdwa v104, v3, v53 dst_sel:DWORD dst_unused:UNUSED_PAD src0_sel:WORD_1 src1_sel:DWORD
	v_fma_f16 v15, v1, v106, -v15
	v_fma_f16 v57, v2, v107, -v57
	v_mul_f16_sdwa v106, v4, v112 dst_sel:DWORD dst_unused:UNUSED_PAD src0_sel:WORD_1 src1_sel:DWORD
	v_mul_f16_sdwa v107, v4, v29 dst_sel:DWORD dst_unused:UNUSED_PAD src0_sel:WORD_1 src1_sel:DWORD
	v_fmac_f16_e32 v55, v3, v53
	v_fma_f16 v53, v3, v109, -v104
	v_mul_f16_sdwa v104, v25, v113 dst_sel:DWORD dst_unused:UNUSED_PAD src0_sel:WORD_1 src1_sel:DWORD
	v_mul_f16_sdwa v109, v26, v116 dst_sel:DWORD dst_unused:UNUSED_PAD src0_sel:WORD_1 src1_sel:DWORD
	v_sub_f16_e32 v52, v72, v52
	v_sub_f16_e32 v21, v73, v21
	;; [unrolled: 1-line block ×4, first 2 shown]
	v_fmac_f16_e32 v106, v4, v29
	v_fma_f16 v29, v4, v112, -v107
	v_mul_f16_sdwa v107, v25, v24 dst_sel:DWORD dst_unused:UNUSED_PAD src0_sel:WORD_1 src1_sel:DWORD
	v_fmac_f16_e32 v104, v25, v24
	v_mul_f16_sdwa v24, v26, v22 dst_sel:DWORD dst_unused:UNUSED_PAD src0_sel:WORD_1 src1_sel:DWORD
	v_fmac_f16_e32 v109, v26, v22
	v_sub_f16_e32 v22, v13, v119
	v_sub_f16_e32 v99, v118, v99
	v_sub_f16_e32 v28, v114, v28
	v_fma_f16 v72, v72, 2.0, -v52
	v_fma_f16 v73, v73, 2.0, -v21
	v_sub_f16_e32 v98, v115, v98
	v_fma_f16 v56, v56, 2.0, -v23
	v_fma_f16 v54, v54, 2.0, -v101
	v_lshrrev_b32_e32 v117, 16, v16
	v_fma_f16 v107, v25, v113, -v107
	v_fma_f16 v113, v118, 2.0, -v99
	v_sub_f16_e32 v73, v72, v73
	v_fma_f16 v115, v115, 2.0, -v98
	v_add_f16_e32 v21, v22, v21
	v_sub_f16_e32 v99, v52, v99
	v_add_f16_e32 v101, v28, v101
	v_sub_f16_e32 v98, v23, v98
	v_sub_f16_e32 v54, v56, v54
	v_mul_f16_sdwa v112, v27, v117 dst_sel:DWORD dst_unused:UNUSED_PAD src0_sel:WORD_1 src1_sel:DWORD
	v_fma_f16 v13, v13, 2.0, -v22
	v_fma_f16 v114, v114, 2.0, -v28
	;; [unrolled: 1-line block ×8, first 2 shown]
	v_lshrrev_b32_e32 v105, 16, v14
	v_fma_f16 v24, v26, v116, -v24
	v_fmac_f16_e32 v112, v27, v16
	v_sub_f16_e32 v113, v13, v113
	v_sub_f16_e32 v115, v114, v115
	v_fmamk_f16 v116, v28, 0xb9a8, v22
	v_mul_f16_sdwa v16, v27, v16 dst_sel:DWORD dst_unused:UNUSED_PAD src0_sel:WORD_1 src1_sel:DWORD
	v_fmamk_f16 v118, v23, 0xb9a8, v52
	v_sub_f16_e32 v56, v72, v56
	v_fma_f16 v114, v114, 2.0, -v115
	v_fmac_f16_e32 v116, 0x39a8, v23
	v_fma_f16 v16, v27, v117, -v16
	v_fmac_f16_e32 v118, 0xb9a8, v28
	v_fma_f16 v23, v72, 2.0, -v56
	v_add_f16_e32 v28, v113, v54
	v_sub_f16_e32 v54, v73, v115
	v_fmamk_f16 v72, v101, 0x39a8, v21
	v_fmamk_f16 v115, v98, 0x39a8, v99
	v_sub_f16_e32 v29, v105, v29
	v_sub_f16_e32 v106, v14, v106
	;; [unrolled: 1-line block ×3, first 2 shown]
	v_fmac_f16_e32 v72, 0x39a8, v98
	v_fmac_f16_e32 v115, 0xb9a8, v101
	v_sub_f16_e32 v98, v103, v109
	v_sub_f16_e32 v101, v102, v104
	v_fma_f16 v104, v105, 2.0, -v29
	v_sub_f16_e32 v105, v15, v107
	v_sub_f16_e32 v107, v55, v112
	;; [unrolled: 1-line block ×3, first 2 shown]
	v_fma_f16 v103, v103, 2.0, -v98
	v_fma_f16 v57, v57, 2.0, -v24
	v_add_f16_e32 v24, v106, v24
	v_fma_f16 v55, v55, 2.0, -v107
	v_fma_f16 v53, v53, 2.0, -v16
	v_sub_f16_e32 v98, v29, v98
	v_add_f16_e32 v16, v101, v16
	v_sub_f16_e32 v107, v105, v107
	v_fma_f16 v14, v14, 2.0, -v106
	v_fma_f16 v102, v102, 2.0, -v101
	;; [unrolled: 1-line block ×8, first 2 shown]
	v_sub_f16_e32 v103, v14, v103
	v_sub_f16_e32 v57, v104, v57
	;; [unrolled: 1-line block ×4, first 2 shown]
	v_fmamk_f16 v109, v101, 0xb9a8, v106
	v_fmamk_f16 v112, v105, 0xb9a8, v29
	v_sub_f16_e32 v114, v13, v114
	v_fma_f16 v14, v14, 2.0, -v103
	v_fma_f16 v104, v104, 2.0, -v57
	;; [unrolled: 1-line block ×4, first 2 shown]
	v_fmac_f16_e32 v109, 0x39a8, v105
	v_fmac_f16_e32 v112, 0xb9a8, v101
	v_fmamk_f16 v101, v16, 0x39a8, v24
	v_fmamk_f16 v105, v107, 0x39a8, v98
	v_fma_f16 v13, v13, 2.0, -v114
	v_fma_f16 v22, v22, 2.0, -v116
	;; [unrolled: 1-line block ×6, first 2 shown]
	v_sub_f16_e32 v102, v14, v102
	v_sub_f16_e32 v15, v104, v15
	v_fma_f16 v99, v99, 2.0, -v115
	v_add_f16_e32 v53, v103, v53
	v_sub_f16_e32 v55, v57, v55
	v_fmac_f16_e32 v101, 0x39a8, v107
	v_fmac_f16_e32 v105, 0xb9a8, v16
	v_pack_b32_f16 v13, v13, v23
	v_pack_b32_f16 v22, v22, v52
	v_fma_f16 v14, v14, 2.0, -v102
	v_fma_f16 v104, v104, 2.0, -v15
	;; [unrolled: 1-line block ×4, first 2 shown]
	v_pack_b32_f16 v23, v113, v73
	v_pack_b32_f16 v21, v21, v99
	v_fma_f16 v29, v103, 2.0, -v53
	v_fma_f16 v57, v57, 2.0, -v55
	;; [unrolled: 1-line block ×4, first 2 shown]
	v_pack_b32_f16 v52, v114, v56
	v_pack_b32_f16 v56, v116, v118
	v_or_b32_e32 v61, 0x4800, v76
	v_or_b32_e32 v62, 0x7800, v76
	;; [unrolled: 1-line block ×7, first 2 shown]
	s_barrier
	buffer_gl0_inv
	ds_write2st64_b32 v111, v13, v22 offset1:1
	ds_write2st64_b32 v111, v23, v21 offset0:2 offset1:3
	ds_write2st64_b32 v111, v52, v56 offset0:4 offset1:5
	v_pack_b32_f16 v13, v28, v54
	v_pack_b32_f16 v21, v72, v115
	;; [unrolled: 1-line block ×10, first 2 shown]
	ds_write2st64_b32 v111, v13, v21 offset0:6 offset1:7
	ds_write2st64_b32 v110, v14, v16 offset1:1
	ds_write2st64_b32 v110, v22, v23 offset0:2 offset1:3
	ds_write2st64_b32 v110, v15, v24 offset0:4 offset1:5
	;; [unrolled: 1-line block ×3, first 2 shown]
	s_and_saveexec_b32 s0, s1
	s_cbranch_execz .LBB0_31
; %bb.30:
	v_mul_f16_sdwa v15, v4, v66 dst_sel:DWORD dst_unused:UNUSED_PAD src0_sel:WORD_1 src1_sel:DWORD
	v_mul_f16_sdwa v16, v1, v6 dst_sel:DWORD dst_unused:UNUSED_PAD src0_sel:WORD_1 src1_sel:DWORD
	;; [unrolled: 1-line block ×5, first 2 shown]
	v_fmac_f16_e32 v15, v4, v9
	v_mul_f16_sdwa v23, v27, v71 dst_sel:DWORD dst_unused:UNUSED_PAD src0_sel:WORD_1 src1_sel:DWORD
	v_fma_f16 v16, v1, v67, -v16
	v_fmac_f16_e32 v22, v3, v8
	v_mul_f16_sdwa v8, v3, v8 dst_sel:DWORD dst_unused:UNUSED_PAD src0_sel:WORD_1 src1_sel:DWORD
	v_mul_f16_sdwa v28, v27, v12 dst_sel:DWORD dst_unused:UNUSED_PAD src0_sel:WORD_1 src1_sel:DWORD
	v_fmac_f16_e32 v29, v1, v6
	v_mul_f16_sdwa v1, v4, v9 dst_sel:DWORD dst_unused:UNUSED_PAD src0_sel:WORD_1 src1_sel:DWORD
	v_mul_f16_sdwa v6, v2, v65 dst_sel:DWORD dst_unused:UNUSED_PAD src0_sel:WORD_1 src1_sel:DWORD
	;; [unrolled: 1-line block ×5, first 2 shown]
	v_fma_f16 v21, v25, v70, -v21
	v_mul_f16_sdwa v52, v25, v70 dst_sel:DWORD dst_unused:UNUSED_PAD src0_sel:WORD_1 src1_sel:DWORD
	v_fmac_f16_e32 v23, v27, v12
	v_fma_f16 v3, v3, v68, -v8
	v_fma_f16 v8, v27, v71, -v28
	v_fma_f16 v1, v4, v66, -v1
	v_fmac_f16_e32 v6, v2, v7
	v_fmac_f16_e32 v9, v26, v11
	v_fma_f16 v13, v2, v65, -v13
	v_fma_f16 v14, v26, v69, -v14
	v_sub_f16_e32 v15, v5, v15
	v_fmac_f16_e32 v52, v25, v10
	v_sub_f16_e32 v8, v3, v8
	v_sub_f16_e32 v2, v16, v21
	;; [unrolled: 1-line block ×8, first 2 shown]
	v_fma_f16 v5, v5, 2.0, -v15
	v_sub_f16_e32 v21, v1, v9
	v_fma_f16 v6, v6, 2.0, -v9
	v_fma_f16 v9, v16, 2.0, -v2
	;; [unrolled: 1-line block ×3, first 2 shown]
	v_add_f16_e32 v24, v14, v15
	v_add_f16_e32 v7, v8, v10
	v_fmamk_f16 v8, v11, 0x39a8, v21
	v_sub_f16_e32 v6, v5, v6
	v_sub_f16_e32 v3, v9, v3
	v_fma_f16 v25, v64, 2.0, -v1
	v_fma_f16 v13, v13, 2.0, -v14
	;; [unrolled: 1-line block ×4, first 2 shown]
	v_fmamk_f16 v12, v7, 0x39a8, v24
	v_fmac_f16_e32 v8, 0xb9a8, v7
	v_add_f16_e32 v23, v6, v3
	v_fma_f16 v15, v15, 2.0, -v24
	v_fma_f16 v7, v10, 2.0, -v7
	v_sub_f16_e32 v13, v25, v13
	v_sub_f16_e32 v4, v14, v4
	v_fma_f16 v2, v2, 2.0, -v11
	v_fma_f16 v1, v1, 2.0, -v21
	v_fmac_f16_e32 v12, 0x39a8, v11
	v_fma_f16 v10, v6, 2.0, -v23
	v_fmamk_f16 v11, v7, 0xb9a8, v15
	v_fma_f16 v5, v5, 2.0, -v6
	v_fma_f16 v6, v14, 2.0, -v4
	;; [unrolled: 1-line block ×4, first 2 shown]
	v_fmamk_f16 v9, v2, 0xb9a8, v1
	v_fmac_f16_e32 v11, 0x39a8, v2
	v_sub_f16_e32 v2, v5, v6
	v_sub_f16_e32 v4, v13, v4
	;; [unrolled: 1-line block ×3, first 2 shown]
	v_fmac_f16_e32 v9, 0xb9a8, v7
	v_fma_f16 v6, v15, 2.0, -v11
	v_fma_f16 v5, v5, 2.0, -v2
	v_and_or_b32 v7, 0x2e00, v108, v100
	v_fma_f16 v14, v14, 2.0, -v3
	v_fma_f16 v1, v1, 2.0, -v9
	v_fma_f16 v16, v24, 2.0, -v12
	v_fma_f16 v13, v13, 2.0, -v4
	v_fma_f16 v15, v21, 2.0, -v8
	v_lshlrev_b32_e32 v7, 2, v7
	v_pack_b32_f16 v5, v5, v14
	v_pack_b32_f16 v1, v6, v1
	;; [unrolled: 1-line block ×8, first 2 shown]
	ds_write2st64_b32 v7, v5, v1 offset1:1
	ds_write2st64_b32 v7, v6, v10 offset0:2 offset1:3
	ds_write2st64_b32 v7, v2, v3 offset0:4 offset1:5
	;; [unrolled: 1-line block ×3, first 2 shown]
.LBB0_31:
	s_or_b32 exec_lo, exec_lo, s0
	s_waitcnt lgkmcnt(0)
	s_barrier
	buffer_gl0_inv
	ds_read2st64_b32 v[1:2], v76 offset0:16 offset1:24
	ds_read2st64_b32 v[3:4], v76 offset0:48 offset1:64
	ds_read_b32 v15, v61
	ds_read2st64_b32 v[5:6], v76 offset0:80 offset1:96
	ds_read_b32 v16, v62
	ds_read2st64_b32 v[7:8], v76 offset0:144 offset1:160
	ds_read2st64_b32 v[9:10], v76 offset0:32 offset1:40
	ds_read_b32 v21, v63
	ds_read_b32 v22, v30
	ds_read2st64_b32 v[11:12], v76 offset0:112 offset1:128
	ds_read_b32 v23, v58
	ds_read_b32 v24, v59
	;; [unrolled: 1-line block ×3, first 2 shown]
	ds_read2st64_b32 v[13:14], v76 offset1:8
	s_waitcnt lgkmcnt(0)
	s_barrier
	buffer_gl0_inv
	s_mov_b32 s4, 0x18618618
	s_mov_b32 s5, 0x3f186186
	s_mul_i32 s6, s20, 0xa80
	v_lshrrev_b32_e32 v26, 16, v2
	v_lshrrev_b32_e32 v27, 16, v3
	;; [unrolled: 1-line block ×5, first 2 shown]
	v_mul_f16_sdwa v68, v17, v26 dst_sel:DWORD dst_unused:UNUSED_PAD src0_sel:WORD_1 src1_sel:DWORD
	v_lshrrev_b32_e32 v53, 16, v7
	v_mul_f16_sdwa v73, v18, v27 dst_sel:DWORD dst_unused:UNUSED_PAD src0_sel:WORD_1 src1_sel:DWORD
	v_mul_f16_sdwa v98, v18, v3 dst_sel:DWORD dst_unused:UNUSED_PAD src0_sel:WORD_1 src1_sel:DWORD
	;; [unrolled: 1-line block ×3, first 2 shown]
	v_fmac_f16_e32 v68, v17, v2
	v_mul_f16_sdwa v2, v17, v2 dst_sel:DWORD dst_unused:UNUSED_PAD src0_sel:WORD_1 src1_sel:DWORD
	v_mul_f16_sdwa v100, v19, v15 dst_sel:DWORD dst_unused:UNUSED_PAD src0_sel:WORD_1 src1_sel:DWORD
	v_lshrrev_b32_e32 v54, 16, v9
	v_lshrrev_b32_e32 v55, 16, v21
	v_fmac_f16_e32 v73, v18, v3
	v_fma_f16 v2, v17, v26, -v2
	v_fma_f16 v3, v18, v27, -v98
	v_fmac_f16_e32 v99, v19, v15
	v_fma_f16 v15, v19, v28, -v100
	v_mul_f16_sdwa v26, v20, v29 dst_sel:DWORD dst_unused:UNUSED_PAD src0_sel:WORD_1 src1_sel:DWORD
	v_mul_f16_sdwa v27, v20, v6 dst_sel:DWORD dst_unused:UNUSED_PAD src0_sel:WORD_1 src1_sel:DWORD
	;; [unrolled: 1-line block ×5, first 2 shown]
	v_lshrrev_b32_e32 v56, 16, v5
	v_lshrrev_b32_e32 v57, 16, v22
	;; [unrolled: 1-line block ×3, first 2 shown]
	v_fmac_f16_e32 v26, v20, v6
	v_fma_f16 v6, v20, v29, -v27
	v_fmac_f16_e32 v28, v36, v16
	v_fma_f16 v16, v36, v52, -v98
	v_fmac_f16_e32 v100, v37, v7
	v_mul_f16_sdwa v7, v37, v7 dst_sel:DWORD dst_unused:UNUSED_PAD src0_sel:WORD_1 src1_sel:DWORD
	v_mul_f16_sdwa v27, v17, v54 dst_sel:DWORD dst_unused:UNUSED_PAD src0_sel:WORD_1 src1_sel:DWORD
	v_mul_f16_sdwa v29, v17, v9 dst_sel:DWORD dst_unused:UNUSED_PAD src0_sel:WORD_1 src1_sel:DWORD
	v_mul_f16_sdwa v52, v18, v55 dst_sel:DWORD dst_unused:UNUSED_PAD src0_sel:WORD_1 src1_sel:DWORD
	v_mul_f16_sdwa v98, v18, v21 dst_sel:DWORD dst_unused:UNUSED_PAD src0_sel:WORD_1 src1_sel:DWORD
	v_lshrrev_b32_e32 v65, 16, v23
	v_lshrrev_b32_e32 v66, 16, v10
	v_fma_f16 v7, v37, v53, -v7
	v_fmac_f16_e32 v27, v17, v9
	v_fma_f16 v9, v17, v54, -v29
	v_fmac_f16_e32 v52, v18, v21
	v_fma_f16 v21, v18, v55, -v98
	v_mul_f16_sdwa v29, v19, v56 dst_sel:DWORD dst_unused:UNUSED_PAD src0_sel:WORD_1 src1_sel:DWORD
	v_mul_f16_sdwa v53, v19, v5 dst_sel:DWORD dst_unused:UNUSED_PAD src0_sel:WORD_1 src1_sel:DWORD
	;; [unrolled: 1-line block ×5, first 2 shown]
	v_lshrrev_b32_e32 v67, 16, v4
	v_lshrrev_b32_e32 v69, 16, v24
	;; [unrolled: 1-line block ×3, first 2 shown]
	v_fmac_f16_e32 v29, v19, v5
	v_fma_f16 v5, v19, v56, -v53
	v_fmac_f16_e32 v54, v20, v22
	v_fma_f16 v22, v20, v57, -v55
	v_fmac_f16_e32 v98, v36, v12
	v_mul_f16_sdwa v12, v36, v12 dst_sel:DWORD dst_unused:UNUSED_PAD src0_sel:WORD_1 src1_sel:DWORD
	v_mul_f16_sdwa v53, v37, v65 dst_sel:DWORD dst_unused:UNUSED_PAD src0_sel:WORD_1 src1_sel:DWORD
	;; [unrolled: 1-line block ×5, first 2 shown]
	v_lshrrev_b32_e32 v71, 16, v25
	v_lshrrev_b32_e32 v72, 16, v8
	v_fma_f16 v12, v36, v64, -v12
	v_fmac_f16_e32 v53, v37, v23
	v_fma_f16 v23, v37, v65, -v55
	v_fmac_f16_e32 v56, v17, v10
	v_fma_f16 v10, v17, v66, -v57
	v_mul_f16_sdwa v17, v18, v67 dst_sel:DWORD dst_unused:UNUSED_PAD src0_sel:WORD_1 src1_sel:DWORD
	v_mul_f16_sdwa v55, v18, v4 dst_sel:DWORD dst_unused:UNUSED_PAD src0_sel:WORD_1 src1_sel:DWORD
	;; [unrolled: 1-line block ×5, first 2 shown]
	v_fmac_f16_e32 v17, v18, v4
	v_fma_f16 v4, v18, v67, -v55
	v_fmac_f16_e32 v57, v19, v24
	v_fma_f16 v18, v19, v69, -v64
	v_fmac_f16_e32 v65, v20, v11
	v_mul_f16_sdwa v11, v20, v11 dst_sel:DWORD dst_unused:UNUSED_PAD src0_sel:WORD_1 src1_sel:DWORD
	v_mul_f16_sdwa v19, v36, v71 dst_sel:DWORD dst_unused:UNUSED_PAD src0_sel:WORD_1 src1_sel:DWORD
	v_mul_f16_sdwa v24, v36, v25 dst_sel:DWORD dst_unused:UNUSED_PAD src0_sel:WORD_1 src1_sel:DWORD
	v_mul_f16_sdwa v55, v37, v72 dst_sel:DWORD dst_unused:UNUSED_PAD src0_sel:WORD_1 src1_sel:DWORD
	v_mul_f16_sdwa v64, v37, v8 dst_sel:DWORD dst_unused:UNUSED_PAD src0_sel:WORD_1 src1_sel:DWORD
	v_fma_f16 v11, v20, v70, -v11
	v_fmac_f16_e32 v19, v36, v25
	v_fma_f16 v20, v36, v71, -v24
	v_fmac_f16_e32 v55, v37, v8
	v_fma_f16 v8, v37, v72, -v64
	v_add_f16_e32 v24, v68, v100
	v_add_f16_e32 v25, v2, v7
	v_sub_f16_e32 v2, v2, v7
	v_add_f16_e32 v7, v73, v28
	v_add_f16_e32 v37, v3, v16
	v_sub_f16_e32 v36, v68, v100
	v_sub_f16_e32 v28, v73, v28
	;; [unrolled: 1-line block ×3, first 2 shown]
	v_add_f16_e32 v16, v99, v26
	v_add_f16_e32 v64, v15, v6
	v_sub_f16_e32 v26, v26, v99
	v_sub_f16_e32 v6, v6, v15
	v_add_f16_e32 v15, v7, v24
	v_add_f16_e32 v66, v37, v25
	v_sub_f16_e32 v67, v7, v24
	v_sub_f16_e32 v68, v37, v25
	;; [unrolled: 1-line block ×6, first 2 shown]
	v_add_f16_e32 v69, v26, v28
	v_add_f16_e32 v70, v6, v3
	v_sub_f16_e32 v71, v26, v28
	v_sub_f16_e32 v72, v6, v3
	;; [unrolled: 1-line block ×3, first 2 shown]
	v_add_f16_e32 v15, v16, v15
	v_add_f16_e32 v16, v64, v66
	v_sub_f16_e32 v3, v3, v2
	v_sub_f16_e32 v26, v36, v26
	;; [unrolled: 1-line block ×3, first 2 shown]
	v_add_f16_e32 v36, v69, v36
	v_add_f16_e32 v2, v70, v2
	;; [unrolled: 1-line block ×3, first 2 shown]
	v_add_f16_sdwa v13, v13, v16 dst_sel:DWORD dst_unused:UNUSED_PAD src0_sel:WORD_1 src1_sel:DWORD
	v_mul_f16_e32 v24, 0x3a52, v24
	v_mul_f16_e32 v25, 0x3a52, v25
	;; [unrolled: 1-line block ×8, first 2 shown]
	v_fmamk_f16 v15, v15, 0xbcab, v64
	v_fmamk_f16 v16, v16, 0xbcab, v13
	;; [unrolled: 1-line block ×4, first 2 shown]
	v_fma_f16 v66, v67, 0x39e0, -v66
	v_fma_f16 v69, v68, 0x39e0, -v69
	;; [unrolled: 1-line block ×4, first 2 shown]
	v_fmamk_f16 v67, v26, 0xb574, v70
	v_fmamk_f16 v68, v6, 0xb574, v71
	v_fma_f16 v26, v26, 0x3574, -v72
	v_fma_f16 v6, v6, 0x3574, -v73
	;; [unrolled: 1-line block ×4, first 2 shown]
	v_add_f16_e32 v7, v7, v15
	v_add_f16_e32 v37, v37, v16
	;; [unrolled: 1-line block ×6, first 2 shown]
	v_fmac_f16_e32 v67, 0xb70e, v36
	v_fmac_f16_e32 v6, 0xb70e, v2
	;; [unrolled: 1-line block ×5, first 2 shown]
	v_sub_f16_e32 v24, v37, v67
	v_add_f16_e32 v25, v6, v15
	v_sub_f16_e32 v36, v16, v26
	v_sub_f16_e32 v6, v15, v6
	v_add_f16_e32 v15, v26, v16
	v_add_f16_e32 v16, v67, v37
	;; [unrolled: 1-line block ×4, first 2 shown]
	v_sub_f16_e32 v27, v27, v53
	v_sub_f16_e32 v9, v9, v23
	v_add_f16_e32 v23, v52, v98
	v_add_f16_e32 v53, v21, v12
	v_fmac_f16_e32 v68, 0xb70e, v2
	v_sub_f16_e32 v70, v66, v3
	v_add_f16_e32 v3, v3, v66
	v_sub_f16_e32 v52, v52, v98
	v_sub_f16_e32 v12, v21, v12
	v_add_f16_e32 v21, v29, v54
	v_add_f16_e32 v66, v5, v22
	v_sub_f16_e32 v29, v54, v29
	v_sub_f16_e32 v5, v22, v5
	v_add_f16_e32 v22, v23, v26
	v_add_f16_e32 v54, v53, v37
	;; [unrolled: 1-line block ×4, first 2 shown]
	v_sub_f16_e32 v28, v69, v28
	v_sub_f16_e32 v7, v7, v68
	;; [unrolled: 1-line block ×8, first 2 shown]
	v_add_f16_e32 v69, v29, v52
	v_add_f16_e32 v72, v5, v12
	v_sub_f16_e32 v73, v29, v52
	v_sub_f16_e32 v98, v5, v12
	;; [unrolled: 1-line block ×3, first 2 shown]
	v_add_f16_e32 v21, v21, v22
	v_add_f16_e32 v22, v66, v54
	v_sub_f16_e32 v12, v12, v9
	v_sub_f16_e32 v29, v27, v29
	;; [unrolled: 1-line block ×3, first 2 shown]
	v_add_f16_e32 v27, v69, v27
	v_add_f16_e32 v9, v72, v9
	;; [unrolled: 1-line block ×3, first 2 shown]
	v_add_f16_sdwa v14, v14, v22 dst_sel:DWORD dst_unused:UNUSED_PAD src0_sel:WORD_1 src1_sel:DWORD
	v_mul_f16_e32 v26, 0x3a52, v26
	v_mul_f16_e32 v37, 0x3a52, v37
	;; [unrolled: 1-line block ×8, first 2 shown]
	v_fmamk_f16 v21, v21, 0xbcab, v54
	v_fmamk_f16 v22, v22, 0xbcab, v14
	;; [unrolled: 1-line block ×4, first 2 shown]
	v_fma_f16 v66, v67, 0x39e0, -v66
	v_fma_f16 v69, v68, 0x39e0, -v69
	;; [unrolled: 1-line block ×4, first 2 shown]
	v_fmamk_f16 v67, v29, 0xb574, v72
	v_fmamk_f16 v68, v5, 0xb574, v73
	v_fma_f16 v29, v29, 0x3574, -v98
	v_fma_f16 v5, v5, 0x3574, -v99
	;; [unrolled: 1-line block ×4, first 2 shown]
	v_add_f16_e32 v23, v23, v21
	v_add_f16_e32 v53, v53, v22
	;; [unrolled: 1-line block ×6, first 2 shown]
	v_fmac_f16_e32 v67, 0xb70e, v27
	v_fmac_f16_e32 v68, 0xb70e, v9
	;; [unrolled: 1-line block ×6, first 2 shown]
	v_add_f16_e32 v9, v68, v23
	v_sub_f16_e32 v26, v53, v67
	v_add_f16_e32 v27, v5, v21
	v_sub_f16_e32 v37, v22, v29
	v_sub_f16_e32 v5, v21, v5
	v_add_f16_e32 v21, v29, v22
	v_sub_f16_e32 v22, v23, v68
	v_add_f16_e32 v23, v67, v53
	v_add_f16_e32 v29, v56, v55
	;; [unrolled: 1-line block ×3, first 2 shown]
	v_sub_f16_e32 v55, v56, v55
	v_sub_f16_e32 v8, v10, v8
	v_add_f16_e32 v10, v17, v19
	v_add_f16_e32 v56, v4, v20
	v_sub_f16_e32 v17, v17, v19
	v_sub_f16_e32 v4, v4, v20
	v_add_f16_e32 v19, v57, v65
	v_add_f16_e32 v20, v18, v11
	;; [unrolled: 4-line block ×3, first 2 shown]
	v_sub_f16_e32 v72, v66, v12
	v_add_f16_e32 v73, v52, v69
	v_add_f16_e32 v12, v12, v66
	v_sub_f16_e32 v52, v69, v52
	v_sub_f16_e32 v66, v10, v29
	;; [unrolled: 1-line block ×7, first 2 shown]
	v_add_f16_e32 v68, v57, v17
	v_add_f16_e32 v69, v11, v4
	v_sub_f16_e32 v98, v57, v17
	v_sub_f16_e32 v99, v11, v4
	v_add_f16_e32 v18, v19, v18
	v_add_f16_e32 v19, v20, v65
	v_sub_f16_e32 v17, v17, v55
	v_sub_f16_e32 v4, v4, v8
	;; [unrolled: 1-line block ×4, first 2 shown]
	v_add_f16_e32 v20, v68, v55
	v_add_f16_e32 v8, v69, v8
	;; [unrolled: 1-line block ×3, first 2 shown]
	v_add_f16_sdwa v1, v1, v19 dst_sel:DWORD dst_unused:UNUSED_PAD src0_sel:WORD_1 src1_sel:DWORD
	v_mul_f16_e32 v29, 0x3a52, v29
	v_mul_f16_e32 v53, 0x3a52, v53
	;; [unrolled: 1-line block ×8, first 2 shown]
	v_fmamk_f16 v18, v18, 0xbcab, v55
	v_fmamk_f16 v19, v19, 0xbcab, v1
	;; [unrolled: 1-line block ×4, first 2 shown]
	v_fma_f16 v65, v66, 0x39e0, -v65
	v_fma_f16 v68, v67, 0x39e0, -v68
	;; [unrolled: 1-line block ×4, first 2 shown]
	v_fmamk_f16 v66, v57, 0xb574, v69
	v_fmamk_f16 v67, v11, 0xb574, v98
	v_fma_f16 v57, v57, 0x3574, -v99
	v_fma_f16 v11, v11, 0x3574, -v100
	;; [unrolled: 1-line block ×4, first 2 shown]
	v_add_f16_e32 v10, v10, v18
	v_add_f16_e32 v56, v56, v19
	v_fmac_f16_e32 v66, 0xb70e, v20
	v_fmac_f16_e32 v67, 0xb70e, v8
	v_pack_b32_f16 v13, v64, v13
	v_pack_b32_f16 v2, v2, v24
	v_add_f16_e32 v65, v65, v18
	v_add_f16_e32 v68, v68, v19
	;; [unrolled: 1-line block ×4, first 2 shown]
	v_fmac_f16_e32 v11, 0xb70e, v8
	v_fmac_f16_e32 v57, 0xb70e, v20
	v_pack_b32_f16 v24, v25, v36
	v_pack_b32_f16 v25, v70, v71
	v_fmac_f16_e32 v17, 0xb70e, v20
	v_fmac_f16_e32 v4, 0xb70e, v8
	v_pack_b32_f16 v3, v3, v28
	v_pack_b32_f16 v6, v6, v15
	v_add_f16_e32 v8, v67, v10
	v_sub_f16_e32 v20, v56, v66
	v_pack_b32_f16 v14, v54, v14
	ds_write2st64_b32 v76, v13, v2 offset1:8
	ds_write2st64_b32 v76, v24, v25 offset0:16 offset1:24
	ds_write2st64_b32 v76, v3, v6 offset0:32 offset1:40
	v_pack_b32_f16 v2, v7, v16
	v_pack_b32_f16 v3, v9, v26
	v_add_f16_e32 v29, v11, v18
	v_sub_f16_e32 v53, v19, v57
	v_pack_b32_f16 v6, v27, v37
	v_sub_f16_e32 v69, v65, v4
	v_add_f16_e32 v98, v17, v68
	v_pack_b32_f16 v9, v12, v52
	v_sub_f16_e32 v11, v18, v11
	v_add_f16_e32 v18, v57, v19
	v_pack_b32_f16 v7, v72, v73
	v_pack_b32_f16 v5, v5, v21
	v_add_f16_e32 v4, v4, v65
	v_sub_f16_e32 v17, v68, v17
	v_sub_f16_e32 v10, v10, v67
	v_add_f16_e32 v19, v66, v56
	v_pack_b32_f16 v12, v22, v23
	ds_write_b32 v63, v14
	ds_write2st64_b32 v76, v2, v3 offset0:48 offset1:64
	ds_write_b32 v61, v6
	ds_write_b32 v59, v9
	ds_write2st64_b32 v76, v7, v5 offset0:80 offset1:96
	ds_write_b32 v30, v12
	v_pack_b32_f16 v2, v8, v20
	v_pack_b32_f16 v1, v55, v1
	;; [unrolled: 1-line block ×7, first 2 shown]
	ds_write_b32 v62, v2
	ds_write2st64_b32 v76, v1, v3 offset0:112 offset1:128
	ds_write_b32 v60, v5
	ds_write_b32 v58, v6
	ds_write2st64_b32 v76, v4, v7 offset0:144 offset1:160
	s_waitcnt lgkmcnt(0)
	s_barrier
	buffer_gl0_inv
	ds_read2st64_b32 v[1:2], v76 offset1:8
	ds_read_b32 v15, v63
	ds_read2st64_b32 v[3:4], v76 offset0:112 offset1:128
	ds_read2st64_b32 v[5:6], v76 offset0:48 offset1:64
	ds_read_b32 v16, v30
	ds_read_b32 v17, v62
	ds_read2st64_b32 v[7:8], v76 offset0:16 offset1:24
	ds_read_b32 v18, v61
	ds_read2st64_b32 v[9:10], v76 offset0:80 offset1:96
	;; [unrolled: 2-line block ×4, first 2 shown]
	ds_read_b32 v21, v58
	s_waitcnt lgkmcnt(13)
	v_lshrrev_b32_e32 v22, 16, v1
	s_waitcnt lgkmcnt(12)
	v_lshrrev_b32_e32 v23, 16, v15
	s_waitcnt lgkmcnt(11)
	v_lshrrev_b32_e32 v24, 16, v3
	s_waitcnt lgkmcnt(10)
	v_lshrrev_b32_e32 v26, 16, v6
	v_mul_f16_sdwa v69, v50, v15 dst_sel:DWORD dst_unused:UNUSED_PAD src0_sel:WORD_1 src1_sel:DWORD
	s_waitcnt lgkmcnt(8)
	v_lshrrev_b32_e32 v27, 16, v17
	v_mul_f16_sdwa v67, v50, v23 dst_sel:DWORD dst_unused:UNUSED_PAD src0_sel:WORD_1 src1_sel:DWORD
	v_mul_f16_sdwa v71, v51, v24 dst_sel:DWORD dst_unused:UNUSED_PAD src0_sel:WORD_1 src1_sel:DWORD
	s_waitcnt lgkmcnt(6)
	v_lshrrev_b32_e32 v29, 16, v18
	v_fma_f16 v23, v50, v23, -v69
	v_lshrrev_b32_e32 v36, 16, v4
	v_fmac_f16_e32 v67, v50, v15
	v_mul_f16_sdwa v15, v51, v3 dst_sel:DWORD dst_unused:UNUSED_PAD src0_sel:WORD_1 src1_sel:DWORD
	v_mul_f16_sdwa v50, v48, v26 dst_sel:DWORD dst_unused:UNUSED_PAD src0_sel:WORD_1 src1_sel:DWORD
	v_fmac_f16_e32 v71, v51, v3
	v_mul_f16_sdwa v3, v48, v6 dst_sel:DWORD dst_unused:UNUSED_PAD src0_sel:WORD_1 src1_sel:DWORD
	s_waitcnt lgkmcnt(5)
	v_lshrrev_b32_e32 v52, 16, v9
	v_fma_f16 v15, v51, v24, -v15
	v_mul_f16_sdwa v24, v49, v27 dst_sel:DWORD dst_unused:UNUSED_PAD src0_sel:WORD_1 src1_sel:DWORD
	v_fmac_f16_e32 v50, v48, v6
	v_mul_f16_sdwa v6, v49, v17 dst_sel:DWORD dst_unused:UNUSED_PAD src0_sel:WORD_1 src1_sel:DWORD
	v_fma_f16 v3, v48, v26, -v3
	v_mul_f16_sdwa v26, v46, v29 dst_sel:DWORD dst_unused:UNUSED_PAD src0_sel:WORD_1 src1_sel:DWORD
	v_fmac_f16_e32 v24, v49, v17
	v_mul_f16_sdwa v17, v46, v18 dst_sel:DWORD dst_unused:UNUSED_PAD src0_sel:WORD_1 src1_sel:DWORD
	s_waitcnt lgkmcnt(4)
	v_lshrrev_b32_e32 v53, 16, v19
	v_fma_f16 v6, v49, v27, -v6
	v_mul_f16_sdwa v27, v47, v36 dst_sel:DWORD dst_unused:UNUSED_PAD src0_sel:WORD_1 src1_sel:DWORD
	v_fmac_f16_e32 v26, v46, v18
	v_mul_f16_sdwa v18, v47, v4 dst_sel:DWORD dst_unused:UNUSED_PAD src0_sel:WORD_1 src1_sel:DWORD
	v_fma_f16 v17, v46, v29, -v17
	v_mul_f16_sdwa v29, v42, v52 dst_sel:DWORD dst_unused:UNUSED_PAD src0_sel:WORD_1 src1_sel:DWORD
	s_waitcnt lgkmcnt(2)
	v_lshrrev_b32_e32 v55, 16, v20
	s_waitcnt lgkmcnt(1)
	v_lshrrev_b32_e32 v56, 16, v13
	v_fmac_f16_e32 v27, v47, v4
	v_mul_f16_sdwa v4, v42, v9 dst_sel:DWORD dst_unused:UNUSED_PAD src0_sel:WORD_1 src1_sel:DWORD
	v_fma_f16 v18, v47, v36, -v18
	v_mul_f16_sdwa v36, v43, v53 dst_sel:DWORD dst_unused:UNUSED_PAD src0_sel:WORD_1 src1_sel:DWORD
	v_fmac_f16_e32 v29, v42, v9
	v_mul_f16_sdwa v9, v43, v19 dst_sel:DWORD dst_unused:UNUSED_PAD src0_sel:WORD_1 src1_sel:DWORD
	v_lshrrev_b32_e32 v64, 16, v10
	v_fma_f16 v4, v42, v52, -v4
	v_mul_f16_sdwa v42, v38, v55 dst_sel:DWORD dst_unused:UNUSED_PAD src0_sel:WORD_1 src1_sel:DWORD
	v_fmac_f16_e32 v36, v43, v19
	v_mul_f16_sdwa v19, v38, v20 dst_sel:DWORD dst_unused:UNUSED_PAD src0_sel:WORD_1 src1_sel:DWORD
	v_fma_f16 v9, v43, v53, -v9
	v_mul_f16_sdwa v43, v39, v56 dst_sel:DWORD dst_unused:UNUSED_PAD src0_sel:WORD_1 src1_sel:DWORD
	s_waitcnt lgkmcnt(0)
	v_lshrrev_b32_e32 v65, 16, v21
	v_lshrrev_b32_e32 v68, 16, v16
	v_fmac_f16_e32 v42, v38, v20
	v_mul_f16_sdwa v20, v39, v13 dst_sel:DWORD dst_unused:UNUSED_PAD src0_sel:WORD_1 src1_sel:DWORD
	v_fma_f16 v19, v38, v55, -v19
	v_mul_f16_sdwa v38, v44, v64 dst_sel:DWORD dst_unused:UNUSED_PAD src0_sel:WORD_1 src1_sel:DWORD
	v_fmac_f16_e32 v43, v39, v13
	v_mul_f16_sdwa v13, v44, v10 dst_sel:DWORD dst_unused:UNUSED_PAD src0_sel:WORD_1 src1_sel:DWORD
	v_lshrrev_b32_e32 v70, 16, v14
	v_fma_f16 v20, v39, v56, -v20
	v_mul_f16_sdwa v39, v45, v65 dst_sel:DWORD dst_unused:UNUSED_PAD src0_sel:WORD_1 src1_sel:DWORD
	v_fmac_f16_e32 v38, v44, v10
	v_mul_f16_sdwa v10, v45, v21 dst_sel:DWORD dst_unused:UNUSED_PAD src0_sel:WORD_1 src1_sel:DWORD
	v_fma_f16 v13, v44, v64, -v13
	v_mul_f16_sdwa v44, v40, v68 dst_sel:DWORD dst_unused:UNUSED_PAD src0_sel:WORD_1 src1_sel:DWORD
	v_fmac_f16_e32 v39, v45, v21
	v_mul_f16_sdwa v21, v40, v16 dst_sel:DWORD dst_unused:UNUSED_PAD src0_sel:WORD_1 src1_sel:DWORD
	;; [unrolled: 4-line block ×3, first 2 shown]
	v_fma_f16 v21, v40, v68, -v21
	v_add_f16_e32 v40, v67, v71
	v_fmac_f16_e32 v45, v41, v14
	v_add_f16_e32 v14, v1, v67
	v_fma_f16 v16, v41, v70, -v16
	v_add_f16_e32 v41, v23, v15
	v_fma_f16 v1, -0.5, v40, v1
	v_sub_f16_e32 v40, v23, v15
	v_add_f16_e32 v23, v22, v23
	v_lshrrev_b32_e32 v25, 16, v2
	v_fmac_f16_e32 v22, -0.5, v41
	v_sub_f16_e32 v41, v67, v71
	v_fmamk_f16 v46, v40, 0xbaee, v1
	v_fmac_f16_e32 v1, 0x3aee, v40
	v_add_f16_e32 v15, v23, v15
	v_add_f16_e32 v23, v50, v24
	v_fmamk_f16 v40, v41, 0x3aee, v22
	v_add_f16_e32 v47, v2, v50
	v_fmac_f16_e32 v22, 0xbaee, v41
	v_add_f16_e32 v41, v3, v6
	v_fmac_f16_e32 v2, -0.5, v23
	v_sub_f16_e32 v23, v3, v6
	v_add_f16_e32 v47, v47, v24
	v_add_f16_e32 v3, v25, v3
	v_fmac_f16_e32 v25, -0.5, v41
	v_sub_f16_e32 v24, v50, v24
	v_lshrrev_b32_e32 v28, 16, v7
	v_fmamk_f16 v41, v23, 0xbaee, v2
	v_fmac_f16_e32 v2, 0x3aee, v23
	v_add_f16_e32 v3, v3, v6
	v_add_f16_e32 v6, v26, v27
	v_fmamk_f16 v23, v24, 0x3aee, v25
	v_fmac_f16_e32 v25, 0xbaee, v24
	v_add_f16_e32 v24, v17, v18
	v_add_f16_e32 v48, v7, v26
	v_fma_f16 v6, -0.5, v6, v7
	v_sub_f16_e32 v7, v17, v18
	v_add_f16_e32 v17, v28, v17
	v_fmac_f16_e32 v28, -0.5, v24
	v_sub_f16_e32 v24, v26, v27
	v_lshrrev_b32_e32 v37, 16, v8
	v_fmamk_f16 v26, v7, 0xbaee, v6
	v_fmac_f16_e32 v6, 0x3aee, v7
	v_add_f16_e32 v7, v17, v18
	v_add_f16_e32 v17, v29, v36
	v_fmamk_f16 v18, v24, 0x3aee, v28
	v_fmac_f16_e32 v28, 0xbaee, v24
	v_add_f16_e32 v24, v4, v9
	v_add_f16_e32 v48, v48, v27
	;; [unrolled: 1-line block ×3, first 2 shown]
	v_fmac_f16_e32 v8, -0.5, v17
	v_sub_f16_e32 v17, v4, v9
	v_add_f16_e32 v4, v37, v4
	v_fmac_f16_e32 v37, -0.5, v24
	v_sub_f16_e32 v24, v29, v36
	v_lshrrev_b32_e32 v54, 16, v11
	v_fmamk_f16 v29, v17, 0xbaee, v8
	v_fmac_f16_e32 v8, 0x3aee, v17
	v_add_f16_e32 v4, v4, v9
	v_add_f16_e32 v9, v42, v43
	v_fmamk_f16 v17, v24, 0x3aee, v37
	v_fmac_f16_e32 v37, 0xbaee, v24
	v_add_f16_e32 v24, v19, v20
	v_add_f16_e32 v27, v27, v36
	;; [unrolled: 1-line block ×3, first 2 shown]
	v_fma_f16 v9, -0.5, v9, v11
	v_sub_f16_e32 v11, v19, v20
	v_add_f16_e32 v19, v54, v19
	v_fmac_f16_e32 v54, -0.5, v24
	v_sub_f16_e32 v24, v42, v43
	v_lshrrev_b32_e32 v57, 16, v12
	v_add_f16_e32 v36, v36, v43
	v_fmamk_f16 v42, v11, 0xbaee, v9
	v_fmac_f16_e32 v9, 0x3aee, v11
	v_add_f16_e32 v11, v19, v20
	v_add_f16_e32 v19, v38, v39
	v_fmamk_f16 v20, v24, 0x3aee, v54
	v_add_f16_e32 v43, v12, v38
	v_fmac_f16_e32 v54, 0xbaee, v24
	v_add_f16_e32 v24, v13, v10
	v_lshrrev_b32_e32 v66, 16, v5
	v_fmac_f16_e32 v12, -0.5, v19
	v_sub_f16_e32 v19, v13, v10
	v_add_f16_e32 v43, v43, v39
	v_add_f16_e32 v13, v57, v13
	v_fmac_f16_e32 v57, -0.5, v24
	v_sub_f16_e32 v24, v38, v39
	v_add_f16_e32 v39, v44, v45
	v_add_f16_e32 v14, v14, v71
	v_fmamk_f16 v38, v19, 0xbaee, v12
	v_fmac_f16_e32 v12, 0x3aee, v19
	v_add_f16_e32 v10, v13, v10
	v_fmamk_f16 v13, v24, 0x3aee, v57
	v_add_f16_e32 v19, v5, v44
	v_fmac_f16_e32 v5, -0.5, v39
	v_sub_f16_e32 v39, v21, v16
	v_fmac_f16_e32 v57, 0xbaee, v24
	v_add_f16_e32 v24, v21, v16
	v_add_f16_e32 v21, v66, v21
	v_pack_b32_f16 v14, v14, v15
	v_pack_b32_f16 v3, v47, v3
	;; [unrolled: 1-line block ×4, first 2 shown]
	v_add_f16_e32 v16, v21, v16
	v_pack_b32_f16 v21, v46, v40
	ds_write2st64_b32 v76, v14, v3 offset1:8
	v_pack_b32_f16 v3, v48, v7
	v_pack_b32_f16 v7, v26, v18
	;; [unrolled: 1-line block ×3, first 2 shown]
	v_fmac_f16_e32 v66, -0.5, v24
	v_sub_f16_e32 v24, v44, v45
	v_pack_b32_f16 v4, v27, v4
	ds_write_b32 v63, v21
	ds_write_b32 v62, v2
	;; [unrolled: 1-line block ×3, first 2 shown]
	ds_write2st64_b32 v76, v1, v6 offset0:112 offset1:128
	ds_write2st64_b32 v76, v3, v4 offset0:16 offset1:24
	v_pack_b32_f16 v1, v8, v37
	v_pack_b32_f16 v2, v42, v20
	;; [unrolled: 1-line block ×4, first 2 shown]
	v_add_f16_e32 v19, v19, v45
	v_fmamk_f16 v49, v39, 0xbaee, v5
	v_fmamk_f16 v15, v24, 0x3aee, v66
	v_fmac_f16_e32 v5, 0x3aee, v39
	v_fmac_f16_e32 v66, 0xbaee, v24
	v_pack_b32_f16 v6, v29, v17
	ds_write_b32 v60, v1
	ds_write_b32 v59, v2
	v_pack_b32_f16 v2, v38, v13
	ds_write2st64_b32 v76, v3, v4 offset0:32 offset1:40
	v_pack_b32_f16 v3, v12, v57
	v_pack_b32_f16 v14, v41, v23
	;; [unrolled: 1-line block ×6, first 2 shown]
	ds_write2st64_b32 v76, v6, v2 offset0:80 offset1:96
	ds_write_b32 v58, v3
	ds_write2st64_b32 v76, v4, v14 offset0:48 offset1:64
	ds_write_b32 v30, v7
	ds_write2st64_b32 v76, v1, v5 offset0:144 offset1:160
	s_waitcnt lgkmcnt(0)
	s_barrier
	buffer_gl0_inv
	ds_read2st64_b32 v[4:5], v76 offset1:8
	s_waitcnt lgkmcnt(0)
	v_lshrrev_b32_e32 v3, 16, v4
	v_mul_f16_sdwa v1, v97, v3 dst_sel:DWORD dst_unused:UNUSED_PAD src0_sel:WORD_1 src1_sel:DWORD
	v_fmac_f16_e32 v1, v97, v4
	v_mul_f16_sdwa v4, v97, v4 dst_sel:DWORD dst_unused:UNUSED_PAD src0_sel:WORD_1 src1_sel:DWORD
	v_cvt_f32_f16_e32 v1, v1
	v_fma_f16 v3, v97, v3, -v4
	v_cvt_f64_f32_e32 v[1:2], v1
	v_cvt_f32_f16_e32 v6, v3
	v_mul_f64 v[3:4], v[1:2], s[4:5]
	v_cvt_f64_f32_e32 v[1:2], v6
	v_and_or_b32 v3, 0x1ff, v4, v3
	v_mul_f64 v[6:7], v[1:2], s[4:5]
	v_lshrrev_b32_e32 v8, 8, v4
	v_bfe_u32 v10, v4, 20, 11
	v_cmp_ne_u32_e64 s0, 0, v3
	ds_read2st64_b32 v[2:3], v76 offset0:32 offset1:42
	v_add_nc_u32_e32 v18, 0xfffffc10, v10
	v_cndmask_b32_e64 v1, 0, 1, s0
	v_and_or_b32 v14, 0xffe, v8, v1
	v_sub_nc_u32_e32 v1, 0x3f1, v10
	v_mad_u64_u32 v[8:9], null, s22, v35, 0
	v_or_b32_e32 v11, 0x1000, v14
	v_med3_i32 v1, v1, 0, 13
	v_lshl_or_b32 v19, v18, 12, v14
	v_and_or_b32 v6, 0x1ff, v7, v6
	v_lshrrev_b32_e32 v13, 8, v7
	v_bfe_u32 v17, v7, 20, 11
	s_waitcnt lgkmcnt(0)
	v_lshrrev_b32_e32 v15, 16, v3
	v_lshrrev_b32_e32 v12, v1, v11
	v_cmp_ne_u32_e64 s0, 0, v6
	v_lshrrev_b32_e32 v7, 16, v7
	v_mul_f16_sdwa v16, v96, v15 dst_sel:DWORD dst_unused:UNUSED_PAD src0_sel:WORD_1 src1_sel:DWORD
	v_lshlrev_b32_e32 v1, v1, v12
	v_cndmask_b32_e64 v6, 0, 1, s0
	v_fmac_f16_e32 v16, v96, v3
	v_cmp_ne_u32_e64 s0, v1, v11
	v_and_or_b32 v6, 0xffe, v13, v6
	v_sub_nc_u32_e32 v13, 0x3f1, v17
	v_mul_f16_sdwa v3, v96, v3 dst_sel:DWORD dst_unused:UNUSED_PAD src0_sel:WORD_1 src1_sel:DWORD
	v_cvt_f32_f16_e32 v10, v16
	v_cndmask_b32_e64 v1, 0, 1, s0
	v_or_b32_e32 v16, 0x1000, v6
	v_med3_i32 v13, v13, 0, 13
	v_cmp_gt_i32_e64 s0, 1, v18
	v_cvt_f64_f32_e32 v[10:11], v10
	v_or_b32_e32 v12, v12, v1
	v_mov_b32_e32 v1, v9
	v_lshrrev_b32_e32 v20, v13, v16
	v_add_nc_u32_e32 v17, 0xfffffc10, v17
	v_fma_f16 v3, v96, v15, -v3
	v_cndmask_b32_e64 v9, v19, v12, s0
	v_lshlrev_b32_e32 v19, v13, v20
	v_mad_u64_u32 v[12:13], null, s23, v35, v[1:2]
	v_and_b32_e32 v1, 7, v9
	v_lshrrev_b32_e32 v15, 2, v9
	v_cmp_ne_u32_e64 s0, v19, v16
	v_cmp_gt_i32_e64 s2, 1, v17
	v_cvt_f32_f16_e32 v3, v3
	v_cmp_eq_u32_e64 s1, 3, v1
	v_cndmask_b32_e64 v13, 0, 1, s0
	v_cmp_lt_i32_e64 s0, 5, v1
	v_mul_f64 v[9:10], v[10:11], s[4:5]
	v_or_b32_e32 v1, v20, v13
	v_lshl_or_b32 v13, v17, 12, v6
	s_or_b32 s0, s1, s0
	v_add_co_ci_u32_e64 v11, s0, 0, v15, s0
	v_cndmask_b32_e64 v1, v13, v1, s2
	v_cmp_ne_u32_e64 s0, 0, v14
	v_cvt_f64_f32_e32 v[13:14], v3
	v_cmp_eq_u32_e64 s2, 0x40f, v18
	v_and_b32_e32 v16, 7, v1
	v_cndmask_b32_e64 v15, 0, 1, s0
	v_cmp_gt_i32_e64 s0, 31, v18
	v_lshrrev_b32_e32 v1, 2, v1
	v_lshrrev_b32_e32 v18, 16, v4
	v_cmp_eq_u32_e64 s1, 3, v16
	v_cndmask_b32_e64 v3, 0x7c00, v11, s0
	v_cmp_lt_i32_e64 s0, 5, v16
	v_lshl_or_b32 v11, v15, 9, 0x7c00
	v_bfe_u32 v19, v10, 20, 11
	v_mad_u64_u32 v[15:16], null, s20, v0, 0
	s_or_b32 s0, s1, s0
	v_cndmask_b32_e64 v11, v3, v11, s2
	v_add_co_ci_u32_e64 v1, s0, 0, v1, s0
	v_and_or_b32 v3, 0x1ff, v10, v9
	v_cmp_ne_u32_e64 s0, 0, v6
	v_lshrrev_b32_e32 v6, 8, v10
	v_mul_f64 v[13:14], v[13:14], s[4:5]
	v_and_or_b32 v11, 0x8000, v18, v11
	v_cndmask_b32_e64 v4, 0, 1, s0
	v_cmp_ne_u32_e64 s0, 0, v3
	v_and_b32_e32 v11, 0xffff, v11
	v_lshl_or_b32 v21, v4, 9, 0x7c00
	v_cndmask_b32_e64 v3, 0, 1, s0
	v_cmp_gt_i32_e64 s0, 31, v17
	v_and_or_b32 v20, 0xffe, v6, v3
	v_sub_nc_u32_e32 v6, 0x3f1, v19
	ds_read2st64_b32 v[3:4], v76 offset0:84 offset1:92
	v_cndmask_b32_e64 v9, 0x7c00, v1, s0
	v_mov_b32_e32 v1, v16
	v_or_b32_e32 v22, 0x1000, v20
	v_med3_i32 v6, v6, 0, 13
	v_cmp_eq_u32_e64 s0, 0x40f, v17
	v_lshrrev_b32_e32 v17, 8, v14
	v_mad_u64_u32 v[0:1], null, s21, v0, v[1:2]
	v_lshrrev_b32_e32 v1, v6, v22
	v_cndmask_b32_e64 v16, v9, v21, s0
	v_mov_b32_e32 v9, v12
	v_lshlrev_b32_e32 v6, v6, v1
	v_and_or_b32 v7, 0x8000, v7, v16
	v_mov_b32_e32 v16, v0
	v_and_or_b32 v0, 0x1ff, v14, v13
	v_add_nc_u32_e32 v13, 0xfffffc10, v19
	v_cmp_ne_u32_e64 s0, v6, v22
	s_waitcnt lgkmcnt(0)
	v_lshrrev_b32_e32 v12, 16, v3
	v_bfe_u32 v19, v14, 20, 11
	v_lshl_or_b32 v23, v7, 16, v11
	v_lshrrev_b32_e32 v14, 16, v14
	v_cndmask_b32_e64 v6, 0, 1, s0
	v_cmp_ne_u32_e64 s0, 0, v0
	v_mul_f16_sdwa v18, v95, v12 dst_sel:DWORD dst_unused:UNUSED_PAD src0_sel:WORD_1 src1_sel:DWORD
	v_or_b32_e32 v1, v1, v6
	v_cndmask_b32_e64 v0, 0, 1, s0
	v_lshl_or_b32 v6, v13, 12, v20
	v_fmac_f16_e32 v18, v95, v3
	v_cmp_gt_i32_e64 s0, 1, v13
	v_and_or_b32 v17, 0xffe, v17, v0
	v_sub_nc_u32_e32 v0, 0x3f1, v19
	v_cndmask_b32_e64 v21, v6, v1, s0
	v_cvt_f32_f16_e32 v6, v18
	v_or_b32_e32 v22, 0x1000, v17
	v_med3_i32 v18, v0, 0, 13
	v_lshlrev_b64 v[0:1], 2, v[8:9]
	v_and_b32_e32 v11, 7, v21
	v_cvt_f64_f32_e32 v[6:7], v6
	v_lshlrev_b64 v[8:9], 2, v[15:16]
	v_lshrrev_b32_e32 v24, v18, v22
	v_add_nc_u32_e32 v15, 0xfffffc10, v19
	v_add_co_u32 v25, s0, s24, v0
	v_add_co_ci_u32_e64 v26, s0, s25, v1, s0
	v_mul_f16_sdwa v1, v95, v3 dst_sel:DWORD dst_unused:UNUSED_PAD src0_sel:WORD_1 src1_sel:DWORD
	v_lshlrev_b32_e32 v0, v18, v24
	v_cmp_lt_i32_e64 s0, 5, v11
	v_cmp_eq_u32_e64 s1, 3, v11
	v_lshrrev_b32_e32 v3, 2, v21
	v_fma_f16 v1, v95, v12, -v1
	v_cmp_ne_u32_e64 s2, v0, v22
	v_lshl_or_b32 v16, v15, 12, v17
	s_or_b32 s0, s1, s0
	v_add_co_ci_u32_e64 v3, s0, 0, v3, s0
	v_cvt_f32_f16_e32 v1, v1
	v_cndmask_b32_e64 v0, 0, 1, s2
	v_cmp_ne_u32_e64 s0, 0, v20
	v_mul_f64 v[6:7], v[6:7], s[4:5]
	v_cmp_eq_u32_e64 s2, 0x40f, v13
	v_cvt_f64_f32_e32 v[11:12], v1
	v_or_b32_e32 v0, v24, v0
	v_cndmask_b32_e64 v18, 0, 1, s0
	v_cmp_gt_i32_e64 s0, 1, v15
	v_lshl_or_b32 v18, v18, 9, 0x7c00
	v_cndmask_b32_e64 v16, v16, v0, s0
	v_add_co_u32 v8, s0, v25, v8
	v_add_co_ci_u32_e64 v9, s0, v26, v9, s0
	v_and_b32_e32 v19, 7, v16
	v_cmp_gt_i32_e64 s0, 31, v13
	ds_read2st64_b32 v[0:1], v76 offset0:116 offset1:126
	v_lshrrev_b32_e32 v13, 2, v16
	v_lshrrev_b32_e32 v16, 16, v10
	v_cmp_eq_u32_e64 s1, 3, v19
	v_cndmask_b32_e64 v3, 0x7c00, v3, s0
	v_cmp_lt_i32_e64 s0, 5, v19
	v_and_or_b32 v6, 0x1ff, v7, v6
	v_mul_f64 v[10:11], v[11:12], s[4:5]
	v_lshrrev_b32_e32 v12, 8, v7
	v_bfe_u32 v19, v7, 20, 11
	s_or_b32 s0, s1, s0
	v_cndmask_b32_e64 v3, v3, v18, s2
	v_add_co_ci_u32_e64 v13, s0, 0, v13, s0
	v_cmp_ne_u32_e64 s0, 0, v6
	s_mul_i32 s1, s21, 0xa80
	v_and_or_b32 v3, 0x8000, v16, v3
	v_lshrrev_b32_e32 v7, 16, v7
	global_store_dword v[8:9], v23, off
	v_cndmask_b32_e64 v6, 0, 1, s0
	v_cmp_ne_u32_e64 s0, 0, v17
	s_waitcnt lgkmcnt(0)
	v_lshrrev_b32_e32 v18, 16, v1
	v_and_b32_e32 v3, 0xffff, v3
	v_and_or_b32 v6, 0xffe, v12, v6
	v_sub_nc_u32_e32 v12, 0x3f1, v19
	v_cndmask_b32_e64 v17, 0, 1, s0
	v_cmp_gt_i32_e64 s0, 31, v15
	v_mul_f16_sdwa v20, v94, v18 dst_sel:DWORD dst_unused:UNUSED_PAD src0_sel:WORD_1 src1_sel:DWORD
	v_or_b32_e32 v21, 0x1000, v6
	v_med3_i32 v22, v12, 0, 13
	v_lshl_or_b32 v17, v17, 9, 0x7c00
	v_cndmask_b32_e64 v13, 0x7c00, v13, s0
	v_cmp_eq_u32_e64 s0, 0x40f, v15
	v_and_or_b32 v10, 0x1ff, v11, v10
	v_lshrrev_b32_e32 v16, v22, v21
	v_fmac_f16_e32 v20, v94, v1
	v_add_nc_u32_e32 v19, 0xfffffc10, v19
	v_cndmask_b32_e64 v15, v13, v17, s0
	v_cmp_ne_u32_e64 s0, 0, v10
	v_lshlrev_b32_e32 v17, v22, v16
	v_cvt_f32_f16_e32 v12, v20
	v_lshrrev_b32_e32 v20, 8, v11
	v_bfe_u32 v22, v11, 20, 11
	v_cndmask_b32_e64 v10, 0, 1, s0
	v_cmp_ne_u32_e64 s0, v17, v21
	v_cvt_f64_f32_e32 v[12:13], v12
	v_and_or_b32 v14, 0x8000, v14, v15
	v_mul_f16_sdwa v1, v94, v1 dst_sel:DWORD dst_unused:UNUSED_PAD src0_sel:WORD_1 src1_sel:DWORD
	v_and_or_b32 v10, 0xffe, v20, v10
	v_cndmask_b32_e64 v17, 0, 1, s0
	v_sub_nc_u32_e32 v20, 0x3f1, v22
	s_mul_hi_u32 s0, s20, 0xa80
	v_fma_f16 v1, v94, v18, -v1
	v_or_b32_e32 v21, 0x1000, v10
	v_or_b32_e32 v16, v16, v17
	v_lshl_or_b32 v17, v19, 12, v6
	v_med3_i32 v20, v20, 0, 13
	s_add_i32 s7, s0, s1
	v_cmp_gt_i32_e64 s0, 1, v19
	v_lshl_or_b32 v3, v14, 16, v3
	v_cvt_f32_f16_e32 v1, v1
	v_add_nc_u32_e32 v18, 0xfffffc10, v22
	v_cmp_eq_u32_e64 s2, 0x40f, v19
	v_cndmask_b32_e64 v15, v17, v16, s0
	v_lshrrev_b32_e32 v16, v20, v21
	v_lshrrev_b32_e32 v22, 16, v5
	s_lshl_b64 s[6:7], s[6:7], 2
	v_mul_f64 v[12:13], v[12:13], s[4:5]
	v_and_b32_e32 v17, 7, v15
	v_lshlrev_b32_e32 v20, v20, v16
	v_cmp_lt_i32_e64 s0, 5, v17
	v_cmp_ne_u32_e64 s1, v20, v21
	v_cndmask_b32_e64 v14, 0, 1, s1
	v_cmp_eq_u32_e64 s1, 3, v17
	v_lshrrev_b32_e32 v17, 2, v15
	v_or_b32_e32 v16, v16, v14
	s_or_b32 s0, s1, s0
	v_cvt_f64_f32_e32 v[14:15], v1
	v_add_co_ci_u32_e64 v17, s0, 0, v17, s0
	v_lshl_or_b32 v1, v18, 12, v10
	v_cmp_gt_i32_e64 s0, 1, v18
	v_and_or_b32 v12, 0x1ff, v13, v12
	v_lshrrev_b32_e32 v20, 8, v13
	v_bfe_u32 v21, v13, 20, 11
	v_lshrrev_b32_e32 v13, 16, v13
	v_cndmask_b32_e64 v1, v1, v16, s0
	v_cmp_gt_i32_e64 s0, 31, v19
	v_cndmask_b32_e64 v16, 0x7c00, v17, s0
	v_cmp_ne_u32_e64 s0, 0, v6
	v_and_b32_e32 v17, 7, v1
	v_lshrrev_b32_e32 v1, 2, v1
	v_cndmask_b32_e64 v6, 0, 1, s0
	v_cmp_ne_u32_e64 s0, 0, v12
	v_cmp_eq_u32_e64 s1, 3, v17
	v_mul_f64 v[14:15], v[14:15], s[4:5]
	v_lshl_or_b32 v6, v6, 9, 0x7c00
	v_cndmask_b32_e64 v12, 0, 1, s0
	v_cmp_lt_i32_e64 s0, 5, v17
	v_sub_nc_u32_e32 v17, 0x3f1, v21
	v_cndmask_b32_e64 v6, v16, v6, s2
	v_and_or_b32 v12, 0xffe, v20, v12
	s_or_b32 s0, s1, s0
	v_med3_i32 v17, v17, 0, 13
	v_add_co_ci_u32_e64 v1, s0, 0, v1, s0
	v_or_b32_e32 v16, 0x1000, v12
	v_cmp_ne_u32_e64 s0, 0, v10
	v_and_or_b32 v20, 0x8000, v7, v6
	v_mul_f16_sdwa v7, v93, v22 dst_sel:DWORD dst_unused:UNUSED_PAD src0_sel:WORD_1 src1_sel:DWORD
	v_lshrrev_b32_e32 v19, v17, v16
	v_cndmask_b32_e64 v10, 0, 1, s0
	v_cmp_gt_i32_e64 s0, 31, v18
	v_fmac_f16_e32 v7, v93, v5
	v_mul_f16_sdwa v5, v93, v5 dst_sel:DWORD dst_unused:UNUSED_PAD src0_sel:WORD_1 src1_sel:DWORD
	v_lshlrev_b32_e32 v6, v17, v19
	v_lshl_or_b32 v10, v10, 9, 0x7c00
	v_cndmask_b32_e64 v1, 0x7c00, v1, s0
	v_cmp_eq_u32_e64 s0, 0x40f, v18
	v_cvt_f32_f16_e32 v7, v7
	v_bfe_u32 v17, v15, 20, 11
	v_fma_f16 v5, v93, v22, -v5
	v_cndmask_b32_e64 v1, v1, v10, s0
	v_cmp_ne_u32_e64 s0, v6, v16
	v_lshrrev_b32_e32 v10, 16, v11
	v_and_or_b32 v11, 0x1ff, v15, v14
	v_add_nc_u32_e32 v14, 0xfffffc10, v21
	v_lshrrev_b32_e32 v16, 8, v15
	v_cndmask_b32_e64 v6, 0, 1, s0
	v_and_or_b32 v1, 0x8000, v10, v1
	v_cmp_ne_u32_e64 s0, 0, v11
	v_and_b32_e32 v10, 0xffff, v20
	v_cvt_f32_f16_e32 v5, v5
	v_or_b32_e32 v18, v19, v6
	v_cvt_f64_f32_e32 v[6:7], v7
	v_cndmask_b32_e64 v11, 0, 1, s0
	v_lshl_or_b32 v19, v14, 12, v12
	v_cmp_gt_i32_e64 s0, 1, v14
	v_lshl_or_b32 v1, v1, 16, v10
	v_lshrrev_b32_e32 v15, 16, v15
	v_and_or_b32 v21, 0xffe, v16, v11
	v_sub_nc_u32_e32 v11, 0x3f1, v17
	v_cndmask_b32_e64 v16, v19, v18, s0
	v_add_co_u32 v8, s0, v8, s6
	v_or_b32_e32 v18, 0x1000, v21
	v_med3_i32 v11, v11, 0, 13
	v_and_b32_e32 v19, 7, v16
	v_add_co_ci_u32_e64 v9, s0, s7, v9, s0
	v_lshrrev_b32_e32 v16, 2, v16
	v_lshrrev_b32_e32 v20, v11, v18
	v_cmp_lt_i32_e64 s0, 5, v19
	v_cmp_eq_u32_e64 s1, 3, v19
	v_add_nc_u32_e32 v19, 0xfffffc10, v17
	v_mul_f64 v[6:7], v[6:7], s[4:5]
	v_lshlrev_b32_e32 v10, v11, v20
	s_or_b32 s0, s1, s0
	v_lshl_or_b32 v17, v19, 12, v21
	v_cmp_ne_u32_e64 s2, v10, v18
	v_cvt_f64_f32_e32 v[10:11], v5
	v_add_co_ci_u32_e64 v5, s0, 0, v16, s0
	v_cmp_ne_u32_e64 s0, 0, v12
	v_cndmask_b32_e64 v18, 0, 1, s2
	v_cndmask_b32_e64 v12, 0, 1, s0
	v_cmp_gt_i32_e64 s0, 31, v14
	v_or_b32_e32 v16, v20, v18
	v_lshl_or_b32 v12, v12, 9, 0x7c00
	v_cndmask_b32_e64 v5, 0x7c00, v5, s0
	v_cmp_gt_i32_e64 s0, 1, v19
	v_and_or_b32 v6, 0x1ff, v7, v6
	v_lshrrev_b32_e32 v22, 8, v7
	v_bfe_u32 v23, v7, 20, 11
	v_cndmask_b32_e64 v18, v17, v16, s0
	v_add_co_u32 v16, s0, v8, s6
	v_add_co_ci_u32_e64 v17, s0, s7, v9, s0
	v_and_b32_e32 v20, 7, v18
	v_cmp_eq_u32_e64 s0, 0x40f, v14
	v_cmp_ne_u32_e64 s1, 0, v6
	v_mul_f64 v[10:11], v[10:11], s[4:5]
	v_lshrrev_b32_e32 v18, 2, v18
	v_cndmask_b32_e64 v12, v5, v12, s0
	v_cmp_lt_i32_e64 s0, 5, v20
	v_cndmask_b32_e64 v14, 0, 1, s1
	v_cmp_eq_u32_e64 s1, 3, v20
	ds_read2st64_b32 v[5:6], v76 offset0:50 offset1:58
	v_sub_nc_u32_e32 v20, 0x3f1, v23
	v_and_or_b32 v24, 0x8000, v13, v12
	v_and_or_b32 v14, 0xffe, v22, v14
	s_or_b32 s0, s1, s0
	global_store_dword v[8:9], v3, off
	global_store_dword v[16:17], v1, off
	v_add_co_ci_u32_e64 v18, s0, 0, v18, s0
	v_cmp_ne_u32_e64 s0, 0, v21
	v_or_b32_e32 v22, 0x1000, v14
	v_med3_i32 v20, v20, 0, 13
	v_cndmask_b32_e64 v21, 0, 1, s0
	v_cmp_gt_i32_e64 s0, 31, v19
	v_lshrrev_b32_e32 v12, v20, v22
	v_and_or_b32 v10, 0x1ff, v11, v10
	v_bfe_u32 v25, v11, 20, 11
	v_lshl_or_b32 v21, v21, 9, 0x7c00
	v_cndmask_b32_e64 v18, 0x7c00, v18, s0
	v_cmp_eq_u32_e64 s0, 0x40f, v19
	v_lshlrev_b32_e32 v13, v20, v12
	s_waitcnt lgkmcnt(0)
	v_lshrrev_b32_e32 v19, 16, v5
	v_lshrrev_b32_e32 v20, 8, v11
	v_cndmask_b32_e64 v18, v18, v21, s0
	v_cmp_ne_u32_e64 s0, 0, v10
	v_mul_f16_sdwa v21, v92, v19 dst_sel:DWORD dst_unused:UNUSED_PAD src0_sel:WORD_1 src1_sel:DWORD
	v_and_or_b32 v15, 0x8000, v15, v18
	v_cndmask_b32_e64 v10, 0, 1, s0
	v_cmp_ne_u32_e64 s0, v13, v22
	v_add_nc_u32_e32 v22, 0xfffffc10, v23
	v_fmac_f16_e32 v21, v92, v5
	v_and_b32_e32 v18, 0xffff, v24
	v_and_or_b32 v10, 0xffe, v20, v10
	v_cndmask_b32_e64 v13, 0, 1, s0
	v_sub_nc_u32_e32 v20, 0x3f1, v25
	v_cmp_gt_i32_e64 s0, 1, v22
	v_cvt_f32_f16_e32 v21, v21
	v_or_b32_e32 v23, 0x1000, v10
	v_or_b32_e32 v12, v12, v13
	v_lshl_or_b32 v13, v22, 12, v14
	v_med3_i32 v20, v20, 0, 13
	v_mul_f16_sdwa v5, v92, v5 dst_sel:DWORD dst_unused:UNUSED_PAD src0_sel:WORD_1 src1_sel:DWORD
	v_lshl_or_b32 v1, v15, 16, v18
	v_add_nc_u32_e32 v18, 0xfffffc10, v25
	v_cndmask_b32_e64 v26, v13, v12, s0
	v_cvt_f64_f32_e32 v[12:13], v21
	v_lshrrev_b32_e32 v21, v20, v23
	v_fma_f16 v5, v92, v19, -v5
	v_lshl_or_b32 v15, v18, 12, v10
	v_and_b32_e32 v24, 7, v26
	v_lshrrev_b32_e32 v8, 2, v26
	v_lshlrev_b32_e32 v3, v20, v21
	v_cvt_f32_f16_e32 v5, v5
	v_cmp_lt_i32_e64 s0, 5, v24
	v_cmp_eq_u32_e64 s1, 3, v24
	v_cmp_ne_u32_e64 s2, v3, v23
	s_or_b32 s0, s1, s0
	v_cndmask_b32_e64 v3, 0, 1, s2
	v_add_co_ci_u32_e64 v19, s0, 0, v8, s0
	v_cmp_ne_u32_e64 s0, 0, v14
	v_cmp_eq_u32_e64 s2, 0x40f, v22
	v_or_b32_e32 v3, v21, v3
	v_mul_f64 v[8:9], v[12:13], s[4:5]
	v_cvt_f64_f32_e32 v[12:13], v5
	v_cndmask_b32_e64 v20, 0, 1, s0
	v_cmp_gt_i32_e64 s0, 1, v18
	v_cndmask_b32_e64 v3, v15, v3, s0
	v_add_co_u32 v14, s0, v16, s6
	v_add_co_ci_u32_e64 v15, s0, s7, v17, s0
	v_and_b32_e32 v5, 7, v3
	v_cmp_gt_i32_e64 s0, 31, v22
	v_lshrrev_b32_e32 v3, 2, v3
	v_lshl_or_b32 v17, v20, 9, 0x7c00
	global_store_dword v[14:15], v1, off
	v_cmp_eq_u32_e64 s1, 3, v5
	v_cndmask_b32_e64 v16, 0x7c00, v19, s0
	v_cmp_lt_i32_e64 s0, 5, v5
	v_lshrrev_b32_e32 v5, 16, v7
	v_lshrrev_b32_e32 v23, 16, v9
	v_cndmask_b32_e64 v1, v16, v17, s2
	s_or_b32 s0, s1, s0
	v_and_or_b32 v16, 0x1ff, v9, v8
	v_add_co_ci_u32_e64 v3, s0, 0, v3, s0
	v_cmp_ne_u32_e64 s0, 0, v10
	v_mul_f64 v[7:8], v[12:13], s[4:5]
	v_lshrrev_b32_e32 v13, 8, v9
	v_and_or_b32 v1, 0x8000, v5, v1
	s_mul_i32 s1, s21, 0xffffe280
	v_cndmask_b32_e64 v10, 0, 1, s0
	v_cmp_ne_u32_e64 s0, 0, v16
	v_bfe_u32 v16, v9, 20, 11
	v_and_b32_e32 v1, 0xffff, v1
	v_lshl_or_b32 v10, v10, 9, 0x7c00
	v_cndmask_b32_e64 v12, 0, 1, s0
	v_cmp_gt_i32_e64 s0, 31, v18
	v_and_or_b32 v17, 0xffe, v13, v12
	v_cndmask_b32_e64 v3, 0x7c00, v3, s0
	v_sub_nc_u32_e32 v12, 0x3f1, v16
	v_lshrrev_b32_e32 v13, 16, v4
	v_cmp_eq_u32_e64 s0, 0x40f, v18
	v_or_b32_e32 v18, 0x1000, v17
	v_add_nc_u32_e32 v16, 0xfffffc10, v16
	v_and_or_b32 v7, 0x1ff, v8, v7
	v_bfe_u32 v20, v8, 20, 11
	v_cndmask_b32_e64 v3, v3, v10, s0
	v_lshrrev_b32_e32 v10, 16, v11
	v_med3_i32 v11, v12, 0, 13
	v_mul_f16_sdwa v12, v91, v13 dst_sel:DWORD dst_unused:UNUSED_PAD src0_sel:WORD_1 src1_sel:DWORD
	s_mul_hi_u32 s0, s20, 0xffffe280
	v_and_or_b32 v3, 0x8000, v10, v3
	v_lshrrev_b32_e32 v5, v11, v18
	v_fmac_f16_e32 v12, v91, v4
	s_sub_i32 s2, s0, s20
	v_cmp_ne_u32_e64 s0, 0, v7
	v_mul_f16_sdwa v4, v91, v4 dst_sel:DWORD dst_unused:UNUSED_PAD src0_sel:WORD_1 src1_sel:DWORD
	v_lshlrev_b32_e32 v19, v11, v5
	v_cvt_f32_f16_e32 v10, v12
	v_lshrrev_b32_e32 v12, 8, v8
	v_cndmask_b32_e64 v7, 0, 1, s0
	v_fma_f16 v4, v91, v13, -v4
	v_cmp_ne_u32_e64 s0, v19, v18
	v_cvt_f64_f32_e32 v[10:11], v10
	v_lshl_or_b32 v1, v3, 16, v1
	v_and_or_b32 v7, 0xffe, v12, v7
	v_sub_nc_u32_e32 v12, 0x3f1, v20
	v_cndmask_b32_e64 v18, 0, 1, s0
	v_cmp_gt_i32_e64 s0, 1, v16
	v_cvt_f32_f16_e32 v4, v4
	v_or_b32_e32 v19, 0x1000, v7
	v_med3_i32 v12, v12, 0, 13
	v_or_b32_e32 v5, v5, v18
	v_lshl_or_b32 v18, v16, 12, v17
	s_add_i32 s1, s2, s1
	v_cndmask_b32_e64 v5, v18, v5, s0
	v_lshrrev_b32_e32 v18, v12, v19
	s_mul_i32 s0, s20, 0xffffe280
	s_lshl_b64 s[8:9], s[0:1], 2
	v_and_b32_e32 v3, 7, v5
	v_lshlrev_b32_e32 v12, v12, v18
	v_mul_f64 v[10:11], v[10:11], s[4:5]
	v_cmp_lt_i32_e64 s0, 5, v3
	v_cmp_eq_u32_e64 s1, 3, v3
	v_cmp_ne_u32_e64 s2, v12, v19
	v_cvt_f64_f32_e32 v[12:13], v4
	v_lshrrev_b32_e32 v4, 2, v5
	v_add_nc_u32_e32 v19, 0xfffffc10, v20
	s_or_b32 s0, s1, s0
	v_cndmask_b32_e64 v3, 0, 1, s2
	v_add_co_u32 v14, s2, v14, s8
	v_add_co_ci_u32_e64 v4, s0, 0, v4, s0
	v_cmp_ne_u32_e64 s0, 0, v17
	v_or_b32_e32 v3, v18, v3
	v_lshl_or_b32 v5, v19, 12, v7
	v_add_co_ci_u32_e64 v15, s2, s9, v15, s2
	v_cndmask_b32_e64 v17, 0, 1, s0
	v_cmp_gt_i32_e64 s0, 1, v19
	v_and_or_b32 v10, 0x1ff, v11, v10
	v_lshrrev_b32_e32 v21, 8, v11
	v_bfe_u32 v22, v11, 20, 11
	v_lshl_or_b32 v17, v17, 9, 0x7c00
	v_cndmask_b32_e64 v3, v5, v3, s0
	v_cmp_gt_i32_e64 s0, 31, v16
	v_mul_f64 v[12:13], v[12:13], s[4:5]
	v_cmp_eq_u32_e64 s2, 0x40f, v16
	global_store_dword v[14:15], v1, off
	v_and_b32_e32 v20, 7, v3
	v_cndmask_b32_e64 v18, 0x7c00, v4, s0
	v_cmp_ne_u32_e64 s0, 0, v10
	ds_read2st64_b32 v[4:5], v76 offset0:134 offset1:142
	v_lshrrev_b32_e32 v3, 2, v3
	v_cmp_eq_u32_e64 s1, 3, v20
	v_cndmask_b32_e64 v16, v18, v17, s2
	v_cndmask_b32_e64 v10, 0, 1, s0
	v_cmp_lt_i32_e64 s0, 5, v20
	v_and_or_b32 v20, 0xffe, v21, v10
	v_sub_nc_u32_e32 v10, 0x3f1, v22
	s_or_b32 s0, s1, s0
	v_add_co_ci_u32_e64 v3, s0, 0, v3, s0
	v_or_b32_e32 v17, 0x1000, v20
	v_med3_i32 v10, v10, 0, 13
	v_cmp_gt_i32_e64 s0, 31, v19
	v_and_or_b32 v12, 0x1ff, v13, v12
	v_bfe_u32 v24, v13, 20, 11
	s_waitcnt lgkmcnt(0)
	v_lshrrev_b32_e32 v18, 16, v4
	v_lshrrev_b32_e32 v21, v10, v17
	v_cndmask_b32_e64 v3, 0x7c00, v3, s0
	v_cmp_ne_u32_e64 s0, 0, v7
	v_mul_f16_sdwa v9, v90, v18 dst_sel:DWORD dst_unused:UNUSED_PAD src0_sel:WORD_1 src1_sel:DWORD
	v_lshlrev_b32_e32 v10, v10, v21
	v_cndmask_b32_e64 v7, 0, 1, s0
	v_fmac_f16_e32 v9, v90, v4
	v_cmp_ne_u32_e64 s0, v10, v17
	v_add_nc_u32_e32 v17, 0xfffffc10, v22
	v_lshrrev_b32_e32 v22, 8, v13
	v_lshl_or_b32 v7, v7, 9, 0x7c00
	v_cvt_f32_f16_e32 v9, v9
	v_cndmask_b32_e64 v10, 0, 1, s0
	v_cmp_ne_u32_e64 s0, 0, v12
	v_lshl_or_b32 v25, v17, 12, v20
	v_mul_f16_sdwa v4, v90, v4 dst_sel:DWORD dst_unused:UNUSED_PAD src0_sel:WORD_1 src1_sel:DWORD
	v_or_b32_e32 v21, v21, v10
	v_cndmask_b32_e64 v12, 0, 1, s0
	v_cvt_f64_f32_e32 v[9:10], v9
	v_cmp_gt_i32_e64 s0, 1, v17
	v_fma_f16 v4, v90, v18, -v4
	v_and_or_b32 v12, 0xffe, v22, v12
	v_sub_nc_u32_e32 v22, 0x3f1, v24
	v_cndmask_b32_e64 v21, v25, v21, s0
	v_cmp_eq_u32_e64 s0, 0x40f, v19
	v_cvt_f32_f16_e32 v18, v4
	v_or_b32_e32 v25, 0x1000, v12
	v_med3_i32 v22, v22, 0, 13
	v_cndmask_b32_e64 v3, v3, v7, s0
	v_lshrrev_b32_e32 v7, 16, v8
	v_and_or_b32 v8, 0x8000, v23, v16
	v_lshrrev_b32_e32 v19, v22, v25
	v_and_b32_e32 v16, 7, v21
	v_and_or_b32 v1, 0x8000, v7, v3
	v_and_b32_e32 v23, 0xffff, v8
	v_lshlrev_b32_e32 v3, v22, v19
	v_cmp_lt_i32_e64 s0, 5, v16
	v_cmp_eq_u32_e64 s1, 3, v16
	v_lshrrev_b32_e32 v16, 2, v21
	v_mul_f64 v[7:8], v[9:10], s[4:5]
	v_cmp_ne_u32_e64 s2, v3, v25
	v_add_nc_u32_e32 v21, 0xfffffc10, v24
	s_or_b32 s0, s1, s0
	v_lshl_or_b32 v1, v1, 16, v23
	v_add_co_ci_u32_e64 v16, s0, 0, v16, s0
	v_cndmask_b32_e64 v3, 0, 1, s2
	v_cmp_ne_u32_e64 s0, 0, v20
	v_lshl_or_b32 v10, v21, 12, v12
	v_lshrrev_b32_e32 v24, 16, v11
	v_or_b32_e32 v9, v19, v3
	v_cndmask_b32_e64 v19, 0, 1, s0
	v_cmp_gt_i32_e64 s0, 1, v21
	ds_read2st64_b32 v[3:4], v76 offset0:16 offset1:24
	v_cndmask_b32_e64 v20, v10, v9, s0
	v_cvt_f64_f32_e32 v[9:10], v18
	v_cmp_gt_i32_e64 s0, 31, v17
	v_and_or_b32 v7, 0x1ff, v8, v7
	v_lshl_or_b32 v18, v19, 9, 0x7c00
	v_and_b32_e32 v19, 7, v20
	v_cndmask_b32_e64 v16, 0x7c00, v16, s0
	v_cmp_eq_u32_e64 s0, 0x40f, v17
	v_cmp_ne_u32_e64 s2, 0, v7
	v_cmp_eq_u32_e64 s1, 3, v19
	v_lshrrev_b32_e32 v17, 2, v20
	v_cndmask_b32_e64 v16, v16, v18, s0
	v_cmp_lt_i32_e64 s0, 5, v19
	v_cndmask_b32_e64 v7, 0, 1, s2
	v_lshrrev_b32_e32 v18, 8, v8
	v_bfe_u32 v19, v8, 20, 11
	s_waitcnt lgkmcnt(0)
	v_lshrrev_b32_e32 v20, 16, v3
	s_or_b32 s0, s1, s0
	v_and_or_b32 v7, 0xffe, v18, v7
	v_sub_nc_u32_e32 v18, 0x3f1, v19
	v_mul_f64 v[9:10], v[9:10], s[4:5]
	v_add_co_ci_u32_e64 v17, s0, 0, v17, s0
	v_cmp_ne_u32_e64 s0, 0, v12
	v_or_b32_e32 v23, 0x1000, v7
	v_med3_i32 v18, v18, 0, 13
	v_mul_f16_sdwa v22, v89, v20 dst_sel:DWORD dst_unused:UNUSED_PAD src0_sel:WORD_1 src1_sel:DWORD
	v_cndmask_b32_e64 v12, 0, 1, s0
	v_cmp_gt_i32_e64 s0, 31, v21
	v_lshrrev_b32_e32 v25, v18, v23
	v_fmac_f16_e32 v22, v89, v3
	v_mul_f16_sdwa v3, v89, v3 dst_sel:DWORD dst_unused:UNUSED_PAD src0_sel:WORD_1 src1_sel:DWORD
	v_lshl_or_b32 v12, v12, 9, 0x7c00
	v_cndmask_b32_e64 v17, 0x7c00, v17, s0
	v_cmp_eq_u32_e64 s0, 0x40f, v21
	v_lshlrev_b32_e32 v18, v18, v25
	v_cvt_f32_f16_e32 v11, v22
	v_lshrrev_b32_e32 v21, 16, v13
	v_cndmask_b32_e64 v17, v17, v12, s0
	v_add_co_u32 v13, s0, v14, s6
	v_add_co_ci_u32_e64 v14, s0, s7, v15, s0
	v_and_or_b32 v9, 0x1ff, v10, v9
	v_cmp_ne_u32_e64 s0, v18, v23
	v_cvt_f64_f32_e32 v[11:12], v11
	v_and_or_b32 v15, 0x8000, v24, v16
	v_and_or_b32 v16, 0x8000, v21, v17
	v_add_nc_u32_e32 v18, 0xfffffc10, v19
	v_cndmask_b32_e64 v17, 0, 1, s0
	v_cmp_ne_u32_e64 s0, 0, v9
	v_lshrrev_b32_e32 v19, 8, v10
	v_bfe_u32 v21, v10, 20, 11
	v_lshl_or_b32 v22, v18, 12, v7
	v_or_b32_e32 v17, v25, v17
	v_cndmask_b32_e64 v9, 0, 1, s0
	v_cmp_gt_i32_e64 s0, 1, v18
	v_and_b32_e32 v15, 0xffff, v15
	global_store_dword v[13:14], v1, off
	v_fma_f16 v1, v89, v20, -v3
	v_and_or_b32 v9, 0xffe, v19, v9
	v_sub_nc_u32_e32 v19, 0x3f1, v21
	v_cndmask_b32_e64 v17, v22, v17, s0
	v_lshl_or_b32 v23, v16, 16, v15
	v_add_co_u32 v15, s0, v13, s6
	v_or_b32_e32 v22, 0x1000, v9
	v_med3_i32 v19, v19, 0, 13
	v_mul_f64 v[11:12], v[11:12], s[4:5]
	v_and_b32_e32 v25, 7, v17
	v_add_co_ci_u32_e64 v16, s0, s7, v14, s0
	v_lshrrev_b32_e32 v24, v19, v22
	v_cvt_f32_f16_e32 v1, v1
	v_cmp_lt_i32_e64 s0, 5, v25
	v_cmp_eq_u32_e64 s1, 3, v25
	v_lshrrev_b32_e32 v17, 2, v17
	v_lshlrev_b32_e32 v3, v19, v24
	v_cvt_f64_f32_e32 v[13:14], v1
	v_add_nc_u32_e32 v19, 0xfffffc10, v21
	s_or_b32 s0, s1, s0
	global_store_dword v[15:16], v23, off
	v_cmp_ne_u32_e64 s2, v3, v22
	v_add_co_ci_u32_e64 v1, s0, 0, v17, s0
	v_cmp_ne_u32_e64 s0, 0, v7
	v_lshl_or_b32 v17, v19, 12, v9
	v_cndmask_b32_e64 v3, 0, 1, s2
	v_cmp_eq_u32_e64 s2, 0x40f, v18
	v_lshrrev_b32_e32 v10, 16, v10
	v_and_or_b32 v11, 0x1ff, v12, v11
	v_cndmask_b32_e64 v7, 0, 1, s0
	v_or_b32_e32 v3, v24, v3
	v_cmp_gt_i32_e64 s0, 1, v19
	v_bfe_u32 v20, v12, 20, 11
	v_lshl_or_b32 v7, v7, 9, 0x7c00
	v_cndmask_b32_e64 v3, v17, v3, s0
	v_cmp_ne_u32_e64 s0, 0, v11
	v_lshrrev_b32_e32 v17, 8, v12
	v_mul_f64 v[13:14], v[13:14], s[4:5]
	v_and_b32_e32 v21, 7, v3
	v_cndmask_b32_e64 v11, 0, 1, s0
	v_cmp_gt_i32_e64 s0, 31, v18
	v_lshrrev_b32_e32 v3, 2, v3
	v_lshrrev_b32_e32 v18, 16, v8
	v_cmp_eq_u32_e64 s1, 3, v21
	v_and_or_b32 v17, 0xffe, v17, v11
	v_sub_nc_u32_e32 v11, 0x3f1, v20
	v_cndmask_b32_e64 v1, 0x7c00, v1, s0
	v_cmp_lt_i32_e64 s0, 5, v21
	v_add_nc_u32_e32 v20, 0xfffffc10, v20
	v_or_b32_e32 v22, 0x1000, v17
	v_med3_i32 v11, v11, 0, 13
	v_cndmask_b32_e64 v1, v1, v7, s2
	s_or_b32 s0, s1, s0
	v_add_co_ci_u32_e64 v3, s0, 0, v3, s0
	v_lshrrev_b32_e32 v7, v11, v22
	v_cmp_ne_u32_e64 s0, 0, v9
	v_and_or_b32 v13, 0x1ff, v14, v13
	v_and_or_b32 v1, 0x8000, v18, v1
	v_lshlrev_b32_e32 v8, v11, v7
	v_cndmask_b32_e64 v9, 0, 1, s0
	v_cmp_gt_i32_e64 s0, 31, v19
	v_lshrrev_b32_e32 v11, 16, v6
	v_and_b32_e32 v1, 0xffff, v1
	v_lshl_or_b32 v9, v9, 9, 0x7c00
	v_cndmask_b32_e64 v3, 0x7c00, v3, s0
	v_cmp_ne_u32_e64 s0, v8, v22
	v_mul_f16_sdwa v21, v88, v11 dst_sel:DWORD dst_unused:UNUSED_PAD src0_sel:WORD_1 src1_sel:DWORD
	v_cndmask_b32_e64 v8, 0, 1, s0
	v_cmp_eq_u32_e64 s0, 0x40f, v19
	v_fmac_f16_e32 v21, v88, v6
	v_bfe_u32 v19, v14, 20, 11
	v_mul_f16_sdwa v6, v88, v6 dst_sel:DWORD dst_unused:UNUSED_PAD src0_sel:WORD_1 src1_sel:DWORD
	v_or_b32_e32 v7, v7, v8
	v_cndmask_b32_e64 v3, v3, v9, s0
	v_cmp_ne_u32_e64 s0, 0, v13
	v_lshrrev_b32_e32 v13, 8, v14
	v_lshl_or_b32 v8, v20, 12, v17
	v_cvt_f32_f16_e32 v21, v21
	v_and_or_b32 v3, 0x8000, v10, v3
	v_cndmask_b32_e64 v9, 0, 1, s0
	v_cmp_gt_i32_e64 s0, 1, v20
	v_fma_f16 v6, v88, v11, -v6
	v_lshl_or_b32 v1, v3, 16, v1
	v_and_or_b32 v23, 0xffe, v13, v9
	v_sub_nc_u32_e32 v9, 0x3f1, v19
	v_cndmask_b32_e64 v22, v8, v7, s0
	v_cvt_f64_f32_e32 v[7:8], v21
	v_cvt_f32_f16_e32 v6, v6
	v_or_b32_e32 v21, 0x1000, v23
	v_med3_i32 v9, v9, 0, 13
	v_and_b32_e32 v13, 7, v22
	v_lshrrev_b32_e32 v10, 2, v22
	v_add_nc_u32_e32 v19, 0xfffffc10, v19
	v_lshrrev_b32_e32 v18, v9, v21
	v_cmp_lt_i32_e64 s0, 5, v13
	v_cmp_eq_u32_e64 s1, 3, v13
	v_lshlrev_b32_e32 v9, v9, v18
	s_or_b32 s0, s1, s0
	v_add_co_ci_u32_e64 v13, s0, 0, v10, s0
	v_cmp_ne_u32_e64 s0, v9, v21
	v_cvt_f64_f32_e32 v[10:11], v6
	v_mul_f64 v[8:9], v[7:8], s[4:5]
	v_cndmask_b32_e64 v21, 0, 1, s0
	v_cmp_ne_u32_e64 s0, 0, v17
	v_lshl_or_b32 v17, v19, 12, v23
	v_or_b32_e32 v7, v18, v21
	v_cndmask_b32_e64 v6, 0, 1, s0
	v_cmp_gt_i32_e64 s0, 31, v20
	v_lshrrev_b32_e32 v18, 16, v12
	v_lshl_or_b32 v6, v6, 9, 0x7c00
	v_cndmask_b32_e64 v13, 0x7c00, v13, s0
	v_cmp_gt_i32_e64 s0, 1, v19
	v_cndmask_b32_e64 v17, v17, v7, s0
	v_cmp_eq_u32_e64 s0, 0x40f, v20
	v_and_or_b32 v8, 0x1ff, v9, v8
	v_mul_f64 v[10:11], v[10:11], s[4:5]
	v_and_b32_e32 v20, 7, v17
	v_cndmask_b32_e64 v3, v13, v6, s0
	ds_read2st64_b32 v[6:7], v76 offset0:100 offset1:108
	v_add_co_u32 v12, s0, v15, s6
	v_cmp_ne_u32_e64 s2, 0, v8
	v_add_co_ci_u32_e64 v13, s0, s7, v16, s0
	v_cmp_lt_i32_e64 s0, 5, v20
	v_cmp_eq_u32_e64 s1, 3, v20
	v_lshrrev_b32_e32 v15, 2, v17
	v_cndmask_b32_e64 v8, 0, 1, s2
	v_lshrrev_b32_e32 v16, 8, v9
	v_bfe_u32 v17, v9, 20, 11
	s_or_b32 s0, s1, s0
	v_and_or_b32 v3, 0x8000, v18, v3
	v_add_co_ci_u32_e64 v15, s0, 0, v15, s0
	v_and_or_b32 v8, 0xffe, v16, v8
	v_sub_nc_u32_e32 v16, 0x3f1, v17
	v_cmp_ne_u32_e64 s0, 0, v23
	v_and_or_b32 v10, 0x1ff, v11, v10
	s_waitcnt lgkmcnt(0)
	v_lshrrev_b32_e32 v18, 16, v6
	v_or_b32_e32 v21, 0x1000, v8
	v_med3_i32 v16, v16, 0, 13
	v_cndmask_b32_e64 v20, 0, 1, s0
	v_cmp_gt_i32_e64 s0, 31, v19
	v_mul_f16_sdwa v22, v87, v18 dst_sel:DWORD dst_unused:UNUSED_PAD src0_sel:WORD_1 src1_sel:DWORD
	v_bfe_u32 v24, v11, 20, 11
	v_lshrrev_b32_e32 v23, v16, v21
	v_lshl_or_b32 v20, v20, 9, 0x7c00
	v_cndmask_b32_e64 v15, 0x7c00, v15, s0
	v_cmp_eq_u32_e64 s0, 0x40f, v19
	v_fmac_f16_e32 v22, v87, v6
	v_lshlrev_b32_e32 v16, v16, v23
	v_mul_f16_sdwa v6, v87, v6 dst_sel:DWORD dst_unused:UNUSED_PAD src0_sel:WORD_1 src1_sel:DWORD
	v_and_b32_e32 v3, 0xffff, v3
	v_cndmask_b32_e64 v19, v15, v20, s0
	v_cmp_ne_u32_e64 s0, 0, v10
	v_lshrrev_b32_e32 v20, 16, v14
	v_cvt_f32_f16_e32 v14, v22
	v_lshrrev_b32_e32 v22, 8, v11
	v_fma_f16 v6, v87, v18, -v6
	v_cndmask_b32_e64 v10, 0, 1, s0
	v_cmp_ne_u32_e64 s0, v16, v21
	v_cvt_f64_f32_e32 v[14:15], v14
	v_and_or_b32 v19, 0x8000, v20, v19
	v_add_nc_u32_e32 v20, 0xfffffc10, v17
	v_and_or_b32 v10, 0xffe, v22, v10
	v_cndmask_b32_e64 v16, 0, 1, s0
	v_sub_nc_u32_e32 v17, 0x3f1, v24
	v_lshl_or_b32 v3, v19, 16, v3
	v_lshl_or_b32 v21, v20, 12, v8
	v_or_b32_e32 v22, 0x1000, v10
	v_or_b32_e32 v16, v23, v16
	v_med3_i32 v17, v17, 0, 13
	v_cmp_gt_i32_e64 s0, 1, v20
	global_store_dword v[12:13], v1, off
	v_cvt_f32_f16_e32 v1, v6
	v_lshrrev_b32_e32 v11, 16, v11
	v_cndmask_b32_e64 v18, v21, v16, s0
	v_lshrrev_b32_e32 v21, v17, v22
	v_add_co_u32 v12, s0, v12, s8
	v_add_co_ci_u32_e64 v13, s0, s9, v13, s0
	v_lshlrev_b32_e32 v19, v17, v21
	v_and_b32_e32 v6, 7, v18
	v_mul_f64 v[14:15], v[14:15], s[4:5]
	v_cvt_f64_f32_e32 v[16:17], v1
	global_store_dword v[12:13], v3, off
	v_cmp_ne_u32_e64 s1, v19, v22
	v_cmp_lt_i32_e64 s0, 5, v6
	v_lshrrev_b32_e32 v3, 2, v18
	v_add_nc_u32_e32 v19, 0xfffffc10, v24
	v_cndmask_b32_e64 v1, 0, 1, s1
	v_cmp_eq_u32_e64 s1, 3, v6
	v_lshl_or_b32 v6, v19, 12, v10
	v_or_b32_e32 v1, v21, v1
	s_or_b32 s0, s1, s0
	v_add_co_ci_u32_e64 v3, s0, 0, v3, s0
	v_cmp_ne_u32_e64 s0, 0, v8
	v_lshrrev_b32_e32 v18, 8, v15
	v_cndmask_b32_e64 v8, 0, 1, s0
	v_cmp_gt_i32_e64 s0, 1, v19
	v_mul_f64 v[16:17], v[16:17], s[4:5]
	v_bfe_u32 v21, v15, 20, 11
	v_lshl_or_b32 v8, v8, 9, 0x7c00
	v_cndmask_b32_e64 v1, v6, v1, s0
	v_and_or_b32 v6, 0x1ff, v15, v14
	v_cmp_gt_i32_e64 s0, 31, v20
	v_and_b32_e32 v14, 7, v1
	v_lshrrev_b32_e32 v1, 2, v1
	v_cndmask_b32_e64 v3, 0x7c00, v3, s0
	v_cmp_ne_u32_e64 s0, 0, v6
	v_cmp_eq_u32_e64 s1, 3, v14
	v_cndmask_b32_e64 v6, 0, 1, s0
	v_cmp_eq_u32_e64 s0, 0x40f, v20
	v_lshrrev_b32_e32 v20, 16, v5
	v_and_or_b32 v18, 0xffe, v18, v6
	v_cndmask_b32_e64 v3, v3, v8, s0
	v_cmp_lt_i32_e64 s0, 5, v14
	v_sub_nc_u32_e32 v6, 0x3f1, v21
	v_lshrrev_b32_e32 v14, 16, v9
	v_or_b32_e32 v8, 0x1000, v18
	v_and_or_b32 v16, 0x1ff, v17, v16
	s_or_b32 s0, s1, s0
	v_med3_i32 v6, v6, 0, 13
	v_add_co_ci_u32_e64 v1, s0, 0, v1, s0
	v_cmp_ne_u32_e64 s0, 0, v10
	v_lshrrev_b32_e32 v23, 8, v17
	v_lshrrev_b32_e32 v10, v6, v8
	v_bfe_u32 v24, v17, 20, 11
	v_add_nc_u32_e32 v21, 0xfffffc10, v21
	v_cndmask_b32_e64 v9, 0, 1, s0
	v_cmp_gt_i32_e64 s0, 31, v19
	v_lshlrev_b32_e32 v6, v6, v10
	v_and_or_b32 v3, 0x8000, v14, v3
	v_lshrrev_b32_e32 v17, 16, v17
	v_lshl_or_b32 v22, v9, 9, 0x7c00
	v_cndmask_b32_e64 v1, 0x7c00, v1, s0
	v_mul_f16_sdwa v9, v86, v20 dst_sel:DWORD dst_unused:UNUSED_PAD src0_sel:WORD_1 src1_sel:DWORD
	v_cmp_ne_u32_e64 s0, 0, v16
	v_and_b32_e32 v3, 0xffff, v3
	v_fmac_f16_e32 v9, v86, v5
	v_cndmask_b32_e64 v16, 0, 1, s0
	v_cmp_ne_u32_e64 s0, v6, v8
	v_sub_nc_u32_e32 v8, 0x3f1, v24
	v_mul_f16_sdwa v5, v86, v5 dst_sel:DWORD dst_unused:UNUSED_PAD src0_sel:WORD_1 src1_sel:DWORD
	v_cvt_f32_f16_e32 v9, v9
	v_and_or_b32 v16, 0xffe, v23, v16
	v_cndmask_b32_e64 v6, 0, 1, s0
	v_med3_i32 v25, v8, 0, 13
	v_cmp_gt_i32_e64 s0, 1, v21
	v_cvt_f64_f32_e32 v[8:9], v9
	v_or_b32_e32 v23, 0x1000, v16
	v_or_b32_e32 v6, v10, v6
	v_lshl_or_b32 v10, v21, 12, v18
	v_fma_f16 v5, v86, v20, -v5
	v_cndmask_b32_e64 v6, v10, v6, s0
	v_lshrrev_b32_e32 v10, v25, v23
	v_cmp_eq_u32_e64 s0, 0x40f, v19
	v_and_b32_e32 v14, 7, v6
	v_lshlrev_b32_e32 v19, v25, v10
	v_cndmask_b32_e64 v1, v1, v22, s0
	v_lshrrev_b32_e32 v20, 2, v6
	v_cmp_lt_i32_e64 s0, 5, v14
	v_cmp_ne_u32_e64 s1, v19, v23
	v_and_or_b32 v1, 0x8000, v11, v1
	v_add_nc_u32_e32 v19, 0xfffffc10, v24
	v_cndmask_b32_e64 v11, 0, 1, s1
	v_cmp_eq_u32_e64 s1, 3, v14
	v_cvt_f32_f16_e32 v14, v5
	v_mul_f64 v[5:6], v[8:9], s[4:5]
	v_lshl_or_b32 v1, v1, 16, v3
	v_or_b32_e32 v10, v10, v11
	s_or_b32 s0, s1, s0
	v_cvt_f64_f32_e32 v[8:9], v14
	v_add_co_ci_u32_e64 v14, s0, 0, v20, s0
	v_cmp_ne_u32_e64 s0, 0, v18
	v_lshl_or_b32 v11, v19, 12, v16
	v_cndmask_b32_e64 v18, 0, 1, s0
	v_cmp_gt_i32_e64 s0, 1, v19
	v_cndmask_b32_e64 v20, v11, v10, s0
	v_cmp_gt_i32_e64 s0, 31, v21
	v_and_or_b32 v5, 0x1ff, v6, v5
	v_cndmask_b32_e64 v3, 0x7c00, v14, s0
	v_add_co_u32 v10, s0, v12, s6
	v_add_co_ci_u32_e64 v11, s0, s7, v13, s0
	v_lshl_or_b32 v14, v18, 9, 0x7c00
	v_and_b32_e32 v18, 7, v20
	v_cmp_eq_u32_e64 s0, 0x40f, v21
	v_mul_f64 v[8:9], v[8:9], s[4:5]
	v_cmp_ne_u32_e64 s2, 0, v5
	v_lshrrev_b32_e32 v12, 2, v20
	v_cmp_eq_u32_e64 s1, 3, v18
	v_cndmask_b32_e64 v3, v3, v14, s0
	v_cmp_lt_i32_e64 s0, 5, v18
	v_lshrrev_b32_e32 v14, 16, v15
	v_lshrrev_b32_e32 v15, 16, v4
	v_cndmask_b32_e64 v5, 0, 1, s2
	v_lshrrev_b32_e32 v13, 8, v6
	v_bfe_u32 v18, v6, 20, 11
	s_or_b32 s0, s1, s0
	v_mul_f16_sdwa v20, v85, v15 dst_sel:DWORD dst_unused:UNUSED_PAD src0_sel:WORD_1 src1_sel:DWORD
	v_add_co_ci_u32_e64 v12, s0, 0, v12, s0
	v_and_or_b32 v5, 0xffe, v13, v5
	v_sub_nc_u32_e32 v13, 0x3f1, v18
	v_cmp_ne_u32_e64 s0, 0, v16
	v_fmac_f16_e32 v20, v85, v4
	v_and_or_b32 v3, 0x8000, v14, v3
	v_or_b32_e32 v21, 0x1000, v5
	v_med3_i32 v22, v13, 0, 13
	v_cndmask_b32_e64 v16, 0, 1, s0
	v_cmp_gt_i32_e64 s0, 31, v19
	v_cvt_f32_f16_e32 v13, v20
	v_and_or_b32 v8, 0x1ff, v9, v8
	v_lshrrev_b32_e32 v23, v22, v21
	v_lshl_or_b32 v16, v16, 9, 0x7c00
	v_cndmask_b32_e64 v20, 0x7c00, v12, s0
	v_cmp_eq_u32_e64 s0, 0x40f, v19
	v_cvt_f64_f32_e32 v[12:13], v13
	v_lshrrev_b32_e32 v19, 8, v9
	v_add_nc_u32_e32 v18, 0xfffffc10, v18
	v_mul_f16_sdwa v4, v85, v4 dst_sel:DWORD dst_unused:UNUSED_PAD src0_sel:WORD_1 src1_sel:DWORD
	v_cndmask_b32_e64 v14, v20, v16, s0
	v_lshlrev_b32_e32 v16, v22, v23
	v_cmp_ne_u32_e64 s0, 0, v8
	v_bfe_u32 v20, v9, 20, 11
	v_and_b32_e32 v3, 0xffff, v3
	v_and_or_b32 v14, 0x8000, v17, v14
	global_store_dword v[10:11], v1, off
	v_cndmask_b32_e64 v8, 0, 1, s0
	v_cmp_ne_u32_e64 s0, v16, v21
	v_lshl_or_b32 v21, v18, 12, v5
	v_fma_f16 v1, v85, v15, -v4
	v_and_or_b32 v8, 0xffe, v19, v8
	v_cndmask_b32_e64 v16, 0, 1, s0
	v_sub_nc_u32_e32 v19, 0x3f1, v20
	v_cmp_gt_i32_e64 s0, 1, v18
	v_cvt_f32_f16_e32 v1, v1
	v_or_b32_e32 v17, 0x1000, v8
	v_or_b32_e32 v16, v23, v16
	v_med3_i32 v19, v19, 0, 13
	v_mul_f64 v[12:13], v[12:13], s[4:5]
	v_lshl_or_b32 v23, v14, 16, v3
	v_cvt_f64_f32_e32 v[14:15], v1
	v_cndmask_b32_e64 v16, v21, v16, s0
	v_lshrrev_b32_e32 v21, v19, v17
	v_and_b32_e32 v22, 7, v16
	v_lshlrev_b32_e32 v3, v19, v21
	v_lshrrev_b32_e32 v4, 2, v16
	v_add_nc_u32_e32 v16, 0xfffffc10, v20
	v_cmp_lt_i32_e64 s0, 5, v22
	v_cmp_eq_u32_e64 s1, 3, v22
	v_cmp_ne_u32_e64 s2, v3, v17
	s_or_b32 s0, s1, s0
	v_cndmask_b32_e64 v3, 0, 1, s2
	v_add_co_ci_u32_e64 v1, s0, 0, v4, s0
	v_cmp_ne_u32_e64 s0, 0, v5
	v_lshl_or_b32 v4, v16, 12, v8
	v_or_b32_e32 v3, v21, v3
	v_and_or_b32 v12, 0x1ff, v13, v12
	v_lshrrev_b32_e32 v19, 8, v13
	v_cndmask_b32_e64 v5, 0, 1, s0
	v_cmp_gt_i32_e64 s0, 1, v16
	v_bfe_u32 v20, v13, 20, 11
	v_mul_f64 v[14:15], v[14:15], s[4:5]
	v_lshl_or_b32 v5, v5, 9, 0x7c00
	v_cndmask_b32_e64 v17, v4, v3, s0
	v_cmp_ne_u32_e64 s0, 0, v12
	ds_read2st64_b32 v[3:4], v76 offset0:66 offset1:74
	v_and_b32_e32 v21, 7, v17
	v_cndmask_b32_e64 v12, 0, 1, s0
	v_cmp_gt_i32_e64 s0, 31, v18
	v_cmp_eq_u32_e64 s1, 3, v21
	v_and_or_b32 v12, 0xffe, v19, v12
	v_cndmask_b32_e64 v1, 0x7c00, v1, s0
	v_cmp_eq_u32_e64 s0, 0x40f, v18
	v_sub_nc_u32_e32 v19, 0x3f1, v20
	v_cndmask_b32_e64 v1, v1, v5, s0
	v_lshrrev_b32_e32 v5, 16, v6
	v_cmp_lt_i32_e64 s0, 5, v21
	v_or_b32_e32 v6, 0x1000, v12
	v_med3_i32 v18, v19, 0, 13
	v_bfe_u32 v24, v15, 20, 11
	v_and_or_b32 v1, 0x8000, v5, v1
	v_lshrrev_b32_e32 v5, 2, v17
	s_or_b32 s0, s1, s0
	s_waitcnt lgkmcnt(0)
	v_lshrrev_b32_e32 v17, 16, v3
	v_lshrrev_b32_e32 v19, v18, v6
	v_and_b32_e32 v1, 0xffff, v1
	v_add_co_ci_u32_e64 v5, s0, 0, v5, s0
	v_cmp_ne_u32_e64 s0, 0, v8
	v_mul_f16_sdwa v21, v84, v17 dst_sel:DWORD dst_unused:UNUSED_PAD src0_sel:WORD_1 src1_sel:DWORD
	v_lshlrev_b32_e32 v18, v18, v19
	v_cndmask_b32_e64 v8, 0, 1, s0
	v_cmp_gt_i32_e64 s0, 31, v16
	v_fmac_f16_e32 v21, v84, v3
	v_mul_f16_sdwa v3, v84, v3 dst_sel:DWORD dst_unused:UNUSED_PAD src0_sel:WORD_1 src1_sel:DWORD
	v_lshl_or_b32 v8, v8, 9, 0x7c00
	v_cndmask_b32_e64 v22, 0x7c00, v5, s0
	v_and_or_b32 v5, 0x1ff, v15, v14
	v_cmp_ne_u32_e64 s0, v18, v6
	v_cvt_f32_f16_e32 v6, v21
	v_add_nc_u32_e32 v18, 0xfffffc10, v20
	v_lshrrev_b32_e32 v21, 8, v15
	v_fma_f16 v3, v84, v17, -v3
	v_cndmask_b32_e64 v14, 0, 1, s0
	v_cmp_ne_u32_e64 s0, 0, v5
	v_cvt_f64_f32_e32 v[5:6], v6
	v_lshrrev_b32_e32 v15, 16, v15
	v_cvt_f32_f16_e32 v3, v3
	v_cndmask_b32_e64 v20, 0, 1, s0
	v_cmp_eq_u32_e64 s0, 0x40f, v16
	v_cndmask_b32_e64 v16, v22, v8, s0
	v_or_b32_e32 v8, v19, v14
	v_and_or_b32 v19, 0xffe, v21, v20
	v_sub_nc_u32_e32 v20, 0x3f1, v24
	v_lshrrev_b32_e32 v21, 16, v9
	v_lshl_or_b32 v14, v18, 12, v12
	v_cmp_gt_i32_e64 s0, 1, v18
	v_or_b32_e32 v22, 0x1000, v19
	v_med3_i32 v20, v20, 0, 13
	v_and_or_b32 v16, 0x8000, v21, v16
	v_cndmask_b32_e64 v14, v14, v8, s0
	v_add_co_u32 v8, s0, v10, s6
	v_lshrrev_b32_e32 v21, v20, v22
	v_add_co_ci_u32_e64 v9, s0, s7, v11, s0
	v_mul_f64 v[10:11], v[5:6], s[4:5]
	v_and_b32_e32 v25, 7, v14
	v_lshlrev_b32_e32 v5, v20, v21
	v_lshrrev_b32_e32 v14, 2, v14
	v_lshl_or_b32 v1, v16, 16, v1
	v_add_nc_u32_e32 v16, 0xfffffc10, v24
	v_cmp_lt_i32_e64 s0, 5, v25
	v_cmp_ne_u32_e64 s1, v5, v22
	global_store_dword v[8:9], v23, off
	v_lshl_or_b32 v20, v16, 12, v19
	v_cndmask_b32_e64 v5, 0, 1, s1
	v_cmp_eq_u32_e64 s1, 3, v25
	v_or_b32_e32 v17, v21, v5
	s_or_b32 s0, s1, s0
	v_cvt_f64_f32_e32 v[5:6], v3
	v_add_co_ci_u32_e64 v3, s0, 0, v14, s0
	v_cmp_ne_u32_e64 s0, 0, v12
	v_and_or_b32 v10, 0x1ff, v11, v10
	v_bfe_u32 v21, v11, 20, 11
	v_cndmask_b32_e64 v12, 0, 1, s0
	v_cmp_gt_i32_e64 s0, 1, v16
	v_lshl_or_b32 v12, v12, 9, 0x7c00
	v_cndmask_b32_e64 v14, v20, v17, s0
	v_cmp_gt_i32_e64 s0, 31, v18
	v_lshrrev_b32_e32 v20, 8, v11
	v_and_b32_e32 v17, 7, v14
	v_cndmask_b32_e64 v3, 0x7c00, v3, s0
	v_cmp_ne_u32_e64 s0, 0, v10
	v_cmp_eq_u32_e64 s1, 3, v17
	v_cndmask_b32_e64 v10, 0, 1, s0
	v_cmp_eq_u32_e64 s0, 0x40f, v18
	v_lshrrev_b32_e32 v18, 16, v13
	v_and_or_b32 v10, 0xffe, v20, v10
	v_cndmask_b32_e64 v3, v3, v12, s0
	v_cmp_lt_i32_e64 s0, 5, v17
	v_mul_f64 v[12:13], v[5:6], s[4:5]
	v_lshrrev_b32_e32 v5, 2, v14
	v_sub_nc_u32_e32 v20, 0x3f1, v21
	v_or_b32_e32 v6, 0x1000, v10
	s_or_b32 s0, s1, s0
	v_and_or_b32 v3, 0x8000, v18, v3
	v_add_co_ci_u32_e64 v5, s0, 0, v5, s0
	v_med3_i32 v14, v20, 0, 13
	v_cmp_ne_u32_e64 s0, 0, v19
	v_lshrrev_b32_e32 v20, 16, v7
	v_add_nc_u32_e32 v21, 0xfffffc10, v21
	v_and_b32_e32 v3, 0xffff, v3
	v_lshrrev_b32_e32 v19, v14, v6
	v_cndmask_b32_e64 v17, 0, 1, s0
	v_cmp_gt_i32_e64 s0, 31, v16
	v_mul_f16_sdwa v22, v83, v20 dst_sel:DWORD dst_unused:UNUSED_PAD src0_sel:WORD_1 src1_sel:DWORD
	v_lshlrev_b32_e32 v14, v14, v19
	v_lshl_or_b32 v17, v17, 9, 0x7c00
	v_cndmask_b32_e64 v5, 0x7c00, v5, s0
	v_cmp_eq_u32_e64 s0, 0x40f, v16
	v_fmac_f16_e32 v22, v83, v7
	v_and_or_b32 v12, 0x1ff, v13, v12
	v_bfe_u32 v18, v13, 20, 11
	v_cndmask_b32_e64 v16, v5, v17, s0
	v_cmp_ne_u32_e64 s0, v14, v6
	v_cvt_f32_f16_e32 v5, v22
	v_lshrrev_b32_e32 v17, 8, v13
	v_and_or_b32 v15, 0x8000, v15, v16
	v_cndmask_b32_e64 v14, 0, 1, s0
	v_cmp_ne_u32_e64 s0, 0, v12
	v_cvt_f64_f32_e32 v[5:6], v5
	v_lshl_or_b32 v16, v21, 12, v10
	v_lshl_or_b32 v3, v15, 16, v3
	v_or_b32_e32 v14, v19, v14
	v_cndmask_b32_e64 v12, 0, 1, s0
	v_cmp_gt_i32_e64 s0, 1, v21
	v_and_or_b32 v12, 0xffe, v17, v12
	v_sub_nc_u32_e32 v17, 0x3f1, v18
	v_cndmask_b32_e64 v19, v16, v14, s0
	v_add_co_u32 v8, s0, v8, s6
	v_or_b32_e32 v22, 0x1000, v12
	v_med3_i32 v23, v17, 0, 13
	v_add_co_ci_u32_e64 v9, s0, s7, v9, s0
	v_and_b32_e32 v24, 7, v19
	v_add_co_u32 v16, s0, v8, s8
	v_lshrrev_b32_e32 v25, v23, v22
	v_mul_f64 v[14:15], v[5:6], s[4:5]
	v_mul_f16_sdwa v5, v83, v7 dst_sel:DWORD dst_unused:UNUSED_PAD src0_sel:WORD_1 src1_sel:DWORD
	v_add_co_ci_u32_e64 v17, s0, s9, v9, s0
	v_lshlrev_b32_e32 v6, v23, v25
	v_cmp_lt_i32_e64 s0, 5, v24
	v_cmp_eq_u32_e64 s1, 3, v24
	v_fma_f16 v5, v83, v20, -v5
	v_lshrrev_b32_e32 v7, 2, v19
	v_cmp_ne_u32_e64 s2, v6, v22
	v_add_nc_u32_e32 v20, 0xfffffc10, v18
	s_or_b32 s0, s1, s0
	v_cvt_f32_f16_e32 v5, v5
	v_add_co_ci_u32_e64 v7, s0, 0, v7, s0
	v_cndmask_b32_e64 v6, 0, 1, s2
	v_cmp_ne_u32_e64 s0, 0, v10
	v_cvt_f64_f32_e32 v[18:19], v5
	v_lshl_or_b32 v23, v20, 12, v12
	v_or_b32_e32 v22, v25, v6
	v_cndmask_b32_e64 v10, 0, 1, s0
	v_cmp_gt_i32_e64 s0, 1, v20
	v_and_or_b32 v14, 0x1ff, v15, v14
	ds_read2st64_b32 v[5:6], v76 offset0:150 offset1:158
	v_lshrrev_b32_e32 v24, 8, v15
	v_lshl_or_b32 v10, v10, 9, 0x7c00
	v_cndmask_b32_e64 v22, v23, v22, s0
	v_cmp_gt_i32_e64 s0, 31, v21
	v_bfe_u32 v25, v15, 20, 11
	global_store_dword v[8:9], v1, off
	global_store_dword v[16:17], v3, off
	v_and_b32_e32 v23, 7, v22
	v_cndmask_b32_e64 v7, 0x7c00, v7, s0
	v_cmp_ne_u32_e64 s0, 0, v14
	v_cmp_eq_u32_e64 s1, 3, v23
	v_cndmask_b32_e64 v14, 0, 1, s0
	v_cmp_eq_u32_e64 s0, 0x40f, v21
	v_lshrrev_b32_e32 v21, 16, v11
	v_and_or_b32 v14, 0xffe, v24, v14
	v_cndmask_b32_e64 v7, v7, v10, s0
	v_cmp_lt_i32_e64 s0, 5, v23
	v_mul_f64 v[10:11], v[18:19], s[4:5]
	v_lshrrev_b32_e32 v19, 2, v22
	v_sub_nc_u32_e32 v24, 0x3f1, v25
	v_or_b32_e32 v22, 0x1000, v14
	s_or_b32 s0, s1, s0
	s_waitcnt lgkmcnt(0)
	v_lshrrev_b32_e32 v18, 16, v5
	v_add_co_ci_u32_e64 v19, s0, 0, v19, s0
	v_med3_i32 v23, v24, 0, 13
	v_cmp_ne_u32_e64 s0, 0, v12
	v_mul_f16_sdwa v24, v82, v18 dst_sel:DWORD dst_unused:UNUSED_PAD src0_sel:WORD_1 src1_sel:DWORD
	v_and_or_b32 v7, 0x8000, v21, v7
	v_lshrrev_b32_e32 v26, v23, v22
	v_cndmask_b32_e64 v12, 0, 1, s0
	v_cmp_gt_i32_e64 s0, 31, v20
	v_fmac_f16_e32 v24, v82, v5
	v_and_b32_e32 v7, 0xffff, v7
	v_lshlrev_b32_e32 v21, v23, v26
	v_lshl_or_b32 v12, v12, 9, 0x7c00
	v_cndmask_b32_e64 v19, 0x7c00, v19, s0
	v_cmp_eq_u32_e64 s0, 0x40f, v20
	v_and_or_b32 v10, 0x1ff, v11, v10
	v_cvt_f32_f16_e32 v23, v24
	v_lshrrev_b32_e32 v20, 16, v13
	v_bfe_u32 v24, v11, 20, 11
	v_cndmask_b32_e64 v19, v19, v12, s0
	v_cmp_ne_u32_e64 s0, v21, v22
	v_cvt_f64_f32_e32 v[12:13], v23
	v_add_nc_u32_e32 v22, 0xfffffc10, v25
	v_lshrrev_b32_e32 v23, 8, v11
	v_and_or_b32 v19, 0x8000, v20, v19
	v_cndmask_b32_e64 v21, 0, 1, s0
	v_cmp_ne_u32_e64 s0, 0, v10
	v_mul_f16_sdwa v5, v82, v5 dst_sel:DWORD dst_unused:UNUSED_PAD src0_sel:WORD_1 src1_sel:DWORD
	v_lshrrev_b32_e32 v11, 16, v11
	v_lshl_or_b32 v1, v19, 16, v7
	v_or_b32_e32 v20, v26, v21
	v_cndmask_b32_e64 v10, 0, 1, s0
	v_lshl_or_b32 v21, v22, 12, v14
	v_cmp_gt_i32_e64 s0, 1, v22
	v_fma_f16 v5, v82, v18, -v5
	v_and_or_b32 v23, 0xffe, v23, v10
	v_sub_nc_u32_e32 v10, 0x3f1, v24
	v_cndmask_b32_e64 v20, v21, v20, s0
	v_add_co_u32 v9, s0, v16, s6
	v_or_b32_e32 v21, 0x1000, v23
	v_med3_i32 v25, v10, 0, 13
	v_and_b32_e32 v3, 7, v20
	v_mul_f64 v[7:8], v[12:13], s[4:5]
	v_add_co_ci_u32_e64 v10, s0, s7, v17, s0
	v_lshrrev_b32_e32 v19, v25, v21
	v_cmp_lt_i32_e64 s0, 5, v3
	v_cmp_eq_u32_e64 s1, 3, v3
	v_lshrrev_b32_e32 v3, 2, v20
	v_cvt_f32_f16_e32 v5, v5
	v_lshlrev_b32_e32 v12, v25, v19
	v_add_nc_u32_e32 v16, 0xfffffc10, v24
	s_or_b32 s0, s1, s0
	global_store_dword v[9:10], v1, off
	v_add_co_ci_u32_e64 v3, s0, 0, v3, s0
	v_cmp_ne_u32_e64 s2, v12, v21
	v_cmp_ne_u32_e64 s0, 0, v14
	v_lshl_or_b32 v18, v16, 12, v23
	v_cndmask_b32_e64 v12, 0, 1, s2
	v_cndmask_b32_e64 v14, 0, 1, s0
	v_cmp_gt_i32_e64 s0, 1, v16
	v_and_or_b32 v7, 0x1ff, v8, v7
	v_or_b32_e32 v17, v19, v12
	v_cvt_f64_f32_e32 v[12:13], v5
	v_lshl_or_b32 v14, v14, 9, 0x7c00
	v_bfe_u32 v19, v8, 20, 11
	v_cndmask_b32_e64 v5, v18, v17, s0
	v_cmp_gt_i32_e64 s0, 31, v22
	v_lshrrev_b32_e32 v18, 8, v8
	v_lshrrev_b32_e32 v8, 16, v8
	v_and_b32_e32 v17, 7, v5
	v_cndmask_b32_e64 v3, 0x7c00, v3, s0
	v_cmp_ne_u32_e64 s0, 0, v7
	v_lshrrev_b32_e32 v5, 2, v5
	v_cmp_eq_u32_e64 s1, 3, v17
	v_cndmask_b32_e64 v7, 0, 1, s0
	v_cmp_eq_u32_e64 s0, 0x40f, v22
	v_and_or_b32 v7, 0xffe, v18, v7
	v_cndmask_b32_e64 v3, v3, v14, s0
	v_cmp_lt_i32_e64 s0, 5, v17
	v_mul_f64 v[12:13], v[12:13], s[4:5]
	v_sub_nc_u32_e32 v14, 0x3f1, v19
	v_lshrrev_b32_e32 v17, 16, v2
	v_or_b32_e32 v18, 0x1000, v7
	s_or_b32 s0, s1, s0
	v_add_co_ci_u32_e64 v5, s0, 0, v5, s0
	v_med3_i32 v14, v14, 0, 13
	v_mul_f16_sdwa v20, v81, v17 dst_sel:DWORD dst_unused:UNUSED_PAD src0_sel:WORD_1 src1_sel:DWORD
	v_cmp_ne_u32_e64 s0, 0, v23
	v_lshrrev_b32_e32 v23, 16, v15
	v_lshrrev_b32_e32 v22, v14, v18
	v_fmac_f16_e32 v20, v81, v2
	v_cndmask_b32_e64 v21, 0, 1, s0
	v_cmp_gt_i32_e64 s0, 31, v16
	v_and_or_b32 v3, 0x8000, v23, v3
	v_mul_f16_sdwa v2, v81, v2 dst_sel:DWORD dst_unused:UNUSED_PAD src0_sel:WORD_1 src1_sel:DWORD
	v_cvt_f32_f16_e32 v15, v20
	v_lshl_or_b32 v21, v21, 9, 0x7c00
	v_cndmask_b32_e64 v5, 0x7c00, v5, s0
	v_lshlrev_b32_e32 v20, v14, v22
	v_cmp_eq_u32_e64 s0, 0x40f, v16
	v_and_or_b32 v12, 0x1ff, v13, v12
	v_cvt_f64_f32_e32 v[14:15], v15
	v_and_b32_e32 v3, 0xffff, v3
	v_fma_f16 v2, v81, v17, -v2
	v_cndmask_b32_e64 v5, v5, v21, s0
	v_cmp_ne_u32_e64 s0, v20, v18
	v_add_nc_u32_e32 v18, 0xfffffc10, v19
	v_lshrrev_b32_e32 v19, 8, v13
	v_bfe_u32 v20, v13, 20, 11
	v_and_or_b32 v5, 0x8000, v11, v5
	v_cndmask_b32_e64 v16, 0, 1, s0
	v_cmp_ne_u32_e64 s0, 0, v12
	v_lshrrev_b32_e32 v17, 16, v4
	v_lshrrev_b32_e32 v13, 16, v13
	v_lshl_or_b32 v1, v5, 16, v3
	v_or_b32_e32 v11, v22, v16
	v_lshl_or_b32 v16, v18, 12, v7
	v_cndmask_b32_e64 v12, 0, 1, s0
	v_cmp_gt_i32_e64 s0, 1, v18
	v_and_or_b32 v19, 0xffe, v19, v12
	v_cndmask_b32_e64 v16, v16, v11, s0
	v_sub_nc_u32_e32 v11, 0x3f1, v20
	v_add_co_u32 v9, s0, v9, s6
	v_or_b32_e32 v5, 0x1000, v19
	v_and_b32_e32 v3, 7, v16
	v_med3_i32 v21, v11, 0, 13
	v_add_co_ci_u32_e64 v10, s0, s7, v10, s0
	v_mul_f64 v[11:12], v[14:15], s[4:5]
	v_cmp_lt_i32_e64 s0, 5, v3
	v_lshrrev_b32_e32 v14, v21, v5
	v_cmp_eq_u32_e64 s1, 3, v3
	global_store_dword v[9:10], v1, off
	v_lshrrev_b32_e32 v1, 2, v16
	v_lshlrev_b32_e32 v3, v21, v14
	s_or_b32 s0, s1, s0
	v_add_co_ci_u32_e64 v15, s0, 0, v1, s0
	v_cmp_ne_u32_e64 s0, v3, v5
	v_cvt_f32_f16_e32 v1, v2
	v_add_nc_u32_e32 v5, 0xfffffc10, v20
	v_mul_f16_sdwa v20, v80, v17 dst_sel:DWORD dst_unused:UNUSED_PAD src0_sel:WORD_1 src1_sel:DWORD
	v_cndmask_b32_e64 v3, 0, 1, s0
	v_cmp_ne_u32_e64 s0, 0, v7
	v_cvt_f64_f32_e32 v[1:2], v1
	v_fmac_f16_e32 v20, v80, v4
	v_mul_f16_sdwa v4, v80, v4 dst_sel:DWORD dst_unused:UNUSED_PAD src0_sel:WORD_1 src1_sel:DWORD
	v_or_b32_e32 v3, v14, v3
	v_cndmask_b32_e64 v7, 0, 1, s0
	v_cmp_gt_i32_e64 s0, 31, v18
	v_lshl_or_b32 v14, v5, 12, v19
	v_and_or_b32 v11, 0x1ff, v12, v11
	v_bfe_u32 v16, v12, 20, 11
	v_lshl_or_b32 v7, v7, 9, 0x7c00
	v_cndmask_b32_e64 v15, 0x7c00, v15, s0
	v_cmp_gt_i32_e64 s0, 1, v5
	v_fma_f16 v17, v80, v17, -v4
	v_cndmask_b32_e64 v3, v14, v3, s0
	v_cmp_ne_u32_e64 s0, 0, v11
	v_lshrrev_b32_e32 v14, 8, v12
	v_cndmask_b32_e64 v11, 0, 1, s0
	v_cmp_eq_u32_e64 s0, 0x40f, v18
	v_mul_f64 v[1:2], v[1:2], s[4:5]
	v_and_or_b32 v11, 0xffe, v14, v11
	v_cndmask_b32_e64 v7, v15, v7, s0
	v_and_b32_e32 v15, 7, v3
	v_sub_nc_u32_e32 v14, 0x3f1, v16
	v_lshrrev_b32_e32 v3, 2, v3
	v_or_b32_e32 v18, 0x1000, v11
	v_add_nc_u32_e32 v16, 0xfffffc10, v16
	v_cmp_lt_i32_e64 s0, 5, v15
	v_cmp_eq_u32_e64 s1, 3, v15
	v_med3_i32 v14, v14, 0, 13
	v_and_or_b32 v15, 0x8000, v8, v7
	v_cvt_f32_f16_e32 v8, v20
	s_or_b32 s0, s1, s0
	v_lshrrev_b32_e32 v21, v14, v18
	v_add_co_ci_u32_e64 v3, s0, 0, v3, s0
	v_cmp_ne_u32_e64 s0, 0, v19
	v_lshlrev_b32_e32 v14, v14, v21
	v_and_or_b32 v1, 0x1ff, v2, v1
	v_cndmask_b32_e64 v7, 0, 1, s0
	v_cmp_gt_i32_e64 s0, 31, v5
	v_lshl_or_b32 v19, v7, 9, 0x7c00
	v_cndmask_b32_e64 v3, 0x7c00, v3, s0
	v_cmp_ne_u32_e64 s0, v14, v18
	v_cvt_f64_f32_e32 v[7:8], v8
	v_lshrrev_b32_e32 v18, 8, v2
	v_cndmask_b32_e64 v14, 0, 1, s0
	v_cmp_eq_u32_e64 s0, 0x40f, v5
	v_or_b32_e32 v5, v21, v14
	v_cndmask_b32_e64 v3, v3, v19, s0
	v_cmp_ne_u32_e64 s0, 0, v1
	v_lshl_or_b32 v14, v16, 12, v11
	v_bfe_u32 v19, v2, 20, 11
	v_and_or_b32 v3, 0x8000, v13, v3
	v_cndmask_b32_e64 v1, 0, 1, s0
	v_cmp_gt_i32_e64 s0, 1, v16
	v_sub_nc_u32_e32 v13, 0x3f1, v19
	v_and_or_b32 v1, 0xffe, v18, v1
	v_cndmask_b32_e64 v5, v14, v5, s0
	v_mul_f64 v[7:8], v[7:8], s[4:5]
	v_and_b32_e32 v14, 0xffff, v15
	v_med3_i32 v13, v13, 0, 13
	v_or_b32_e32 v18, 0x1000, v1
	v_and_b32_e32 v15, 7, v5
	v_lshrrev_b32_e32 v5, 2, v5
	v_lshl_or_b32 v14, v3, 16, v14
	v_add_co_u32 v3, s2, v9, s6
	v_cmp_lt_i32_e64 s0, 5, v15
	v_cmp_eq_u32_e64 s1, 3, v15
	v_lshrrev_b32_e32 v15, v13, v18
	v_add_co_ci_u32_e64 v4, s2, s7, v10, s2
	v_cvt_f32_f16_e32 v10, v17
	s_or_b32 s0, s1, s0
	v_lshlrev_b32_e32 v9, v13, v15
	v_add_co_ci_u32_e64 v5, s0, 0, v5, s0
	v_add_nc_u32_e32 v17, 0xfffffc10, v19
	v_cmp_ne_u32_e64 s0, v9, v18
	v_and_or_b32 v7, 0x1ff, v8, v7
	v_cvt_f64_f32_e32 v[9:10], v10
	v_lshrrev_b32_e32 v18, 8, v8
	v_bfe_u32 v19, v8, 20, 11
	v_cndmask_b32_e64 v13, 0, 1, s0
	v_cmp_gt_i32_e64 s0, 31, v16
	v_or_b32_e32 v13, v15, v13
	v_cndmask_b32_e64 v5, 0x7c00, v5, s0
	v_cmp_ne_u32_e64 s0, 0, v7
	v_lshl_or_b32 v15, v17, 12, v1
	v_cndmask_b32_e64 v7, 0, 1, s0
	v_cmp_ne_u32_e64 s0, 0, v11
	v_and_or_b32 v7, 0xffe, v18, v7
	v_cndmask_b32_e64 v11, 0, 1, s0
	v_cmp_gt_i32_e64 s0, 1, v17
	v_lshrrev_b32_e32 v18, 16, v0
	v_mul_f64 v[9:10], v[9:10], s[4:5]
	v_or_b32_e32 v21, 0x1000, v7
	v_lshl_or_b32 v11, v11, 9, 0x7c00
	v_cndmask_b32_e64 v13, v15, v13, s0
	v_sub_nc_u32_e32 v15, 0x3f1, v19
	v_cmp_eq_u32_e64 s0, 0x40f, v16
	v_mul_f16_sdwa v22, v79, v18 dst_sel:DWORD dst_unused:UNUSED_PAD src0_sel:WORD_1 src1_sel:DWORD
	v_add_nc_u32_e32 v19, 0xfffffc10, v19
	v_and_b32_e32 v20, 7, v13
	v_med3_i32 v15, v15, 0, 13
	v_cndmask_b32_e64 v5, v5, v11, s0
	v_lshrrev_b32_e32 v11, 16, v12
	v_fmac_f16_e32 v22, v79, v0
	v_cmp_lt_i32_e64 s0, 5, v20
	v_lshrrev_b32_e32 v16, v15, v21
	v_cmp_eq_u32_e64 s1, 3, v20
	v_and_or_b32 v5, 0x8000, v11, v5
	v_lshrrev_b32_e32 v11, 2, v13
	v_cvt_f32_f16_e32 v13, v22
	v_lshlrev_b32_e32 v12, v15, v16
	s_or_b32 s0, s1, s0
	v_and_b32_e32 v5, 0xffff, v5
	v_add_co_ci_u32_e64 v15, s0, 0, v11, s0
	v_cmp_ne_u32_e64 s0, v12, v21
	v_cvt_f64_f32_e32 v[11:12], v13
	v_and_or_b32 v9, 0x1ff, v10, v9
	v_mul_f16_sdwa v0, v79, v0 dst_sel:DWORD dst_unused:UNUSED_PAD src0_sel:WORD_1 src1_sel:DWORD
	v_cndmask_b32_e64 v20, 0, 1, s0
	v_cmp_ne_u32_e64 s0, 0, v1
	v_fma_f16 v0, v79, v18, -v0
	v_lshrrev_b32_e32 v18, 16, v6
	v_or_b32_e32 v13, v16, v20
	v_cndmask_b32_e64 v1, 0, 1, s0
	v_cmp_gt_i32_e64 s0, 31, v17
	v_lshl_or_b32 v16, v19, 12, v7
	v_bfe_u32 v20, v10, 20, 11
	v_cvt_f32_f16_e32 v0, v0
	v_lshl_or_b32 v1, v1, 9, 0x7c00
	v_cndmask_b32_e64 v15, 0x7c00, v15, s0
	v_cmp_gt_i32_e64 s0, 1, v19
	v_mul_f16_sdwa v22, v78, v18 dst_sel:DWORD dst_unused:UNUSED_PAD src0_sel:WORD_1 src1_sel:DWORD
	v_cndmask_b32_e64 v13, v16, v13, s0
	v_cmp_ne_u32_e64 s0, 0, v9
	v_lshrrev_b32_e32 v16, 8, v10
	v_fmac_f16_e32 v22, v78, v6
	v_mul_f16_sdwa v6, v78, v6 dst_sel:DWORD dst_unused:UNUSED_PAD src0_sel:WORD_1 src1_sel:DWORD
	v_and_b32_e32 v21, 7, v13
	v_cndmask_b32_e64 v9, 0, 1, s0
	v_cmp_eq_u32_e64 s0, 0x40f, v17
	v_lshrrev_b32_e32 v17, 16, v2
	v_lshrrev_b32_e32 v13, 2, v13
	v_cmp_eq_u32_e64 s1, 3, v21
	v_and_or_b32 v9, 0xffe, v16, v9
	v_sub_nc_u32_e32 v16, 0x3f1, v20
	v_cndmask_b32_e64 v15, v15, v1, s0
	v_cmp_lt_i32_e64 s0, 5, v21
	v_mul_f64 v[1:2], v[11:12], s[4:5]
	v_or_b32_e32 v11, 0x1000, v9
	v_med3_i32 v12, v16, 0, 13
	v_and_or_b32 v15, 0x8000, v17, v15
	s_or_b32 s0, s1, s0
	v_fma_f16 v6, v78, v18, -v6
	v_add_co_ci_u32_e64 v13, s0, 0, v13, s0
	v_lshrrev_b32_e32 v16, v12, v11
	v_cmp_ne_u32_e64 s0, 0, v7
	v_lshl_or_b32 v15, v15, 16, v5
	v_cvt_f32_f16_e32 v6, v6
	v_lshlrev_b32_e32 v5, v12, v16
	v_cndmask_b32_e64 v7, 0, 1, s0
	v_cmp_gt_i32_e64 s0, 31, v19
	v_lshl_or_b32 v7, v7, 9, 0x7c00
	v_cndmask_b32_e64 v12, 0x7c00, v13, s0
	v_cmp_ne_u32_e64 s0, v5, v11
	v_and_or_b32 v1, 0x1ff, v2, v1
	v_add_nc_u32_e32 v13, 0xfffffc10, v20
	v_bfe_u32 v17, v2, 20, 11
	v_cndmask_b32_e64 v5, 0, 1, s0
	v_cmp_eq_u32_e64 s0, 0x40f, v19
	v_or_b32_e32 v5, v16, v5
	v_cndmask_b32_e64 v11, v12, v7, s0
	v_cmp_ne_u32_e64 s0, 0, v1
	v_lshl_or_b32 v7, v13, 12, v9
	v_lshrrev_b32_e32 v16, 8, v2
	v_cvt_f64_f32_e32 v[0:1], v0
	v_lshrrev_b32_e32 v2, 16, v2
	v_cndmask_b32_e64 v12, 0, 1, s0
	v_cmp_gt_i32_e64 s0, 1, v13
	v_and_or_b32 v16, 0xffe, v16, v12
	v_cndmask_b32_e64 v5, v7, v5, s0
	v_sub_nc_u32_e32 v7, 0x3f1, v17
	v_lshrrev_b32_e32 v12, 16, v8
	v_add_nc_u32_e32 v17, 0xfffffc10, v17
	v_or_b32_e32 v20, 0x1000, v16
	v_and_b32_e32 v19, 7, v5
	v_med3_i32 v21, v7, 0, 13
	v_add_co_u32 v7, s0, v3, s8
	v_add_co_ci_u32_e64 v8, s0, s9, v4, s0
	v_lshrrev_b32_e32 v24, v21, v20
	v_cmp_lt_i32_e64 s0, 5, v19
	v_cmp_eq_u32_e64 s1, 3, v19
	v_lshrrev_b32_e32 v5, 2, v5
	v_and_or_b32 v23, 0x8000, v12, v11
	v_lshlrev_b32_e32 v19, v21, v24
	v_cvt_f32_f16_e32 v11, v22
	s_or_b32 s0, s1, s0
	v_mul_f64 v[0:1], v[0:1], s[4:5]
	v_add_co_ci_u32_e64 v5, s0, 0, v5, s0
	v_cmp_ne_u32_e64 s0, v19, v20
	v_cvt_f64_f32_e32 v[11:12], v11
	v_lshl_or_b32 v20, v17, 12, v16
	v_cndmask_b32_e64 v19, 0, 1, s0
	v_cmp_ne_u32_e64 s0, 0, v9
	v_or_b32_e32 v19, v24, v19
	v_cndmask_b32_e64 v9, 0, 1, s0
	v_cmp_gt_i32_e64 s0, 31, v13
	v_lshl_or_b32 v9, v9, 9, 0x7c00
	v_cndmask_b32_e64 v5, 0x7c00, v5, s0
	v_cmp_gt_i32_e64 s0, 1, v17
	v_and_or_b32 v0, 0x1ff, v1, v0
	v_cndmask_b32_e64 v18, v20, v19, s0
	v_cmp_eq_u32_e64 s0, 0x40f, v13
	v_lshrrev_b32_e32 v19, 16, v10
	v_and_b32_e32 v20, 7, v18
	v_cndmask_b32_e64 v13, v5, v9, s0
	v_mul_f64 v[9:10], v[11:12], s[4:5]
	v_cvt_f64_f32_e32 v[5:6], v6
	v_cmp_ne_u32_e64 s0, 0, v0
	v_lshrrev_b32_e32 v11, 8, v1
	v_bfe_u32 v12, v1, 20, 11
	v_cmp_eq_u32_e64 s1, 3, v20
	v_lshrrev_b32_e32 v18, 2, v18
	v_cndmask_b32_e64 v0, 0, 1, s0
	v_cmp_lt_i32_e64 s0, 5, v20
	v_and_or_b32 v13, 0x8000, v19, v13
	v_and_b32_e32 v19, 0xffff, v23
	v_lshrrev_b32_e32 v1, 16, v1
	v_and_or_b32 v0, 0xffe, v11, v0
	v_sub_nc_u32_e32 v11, 0x3f1, v12
	s_or_b32 s0, s1, s0
	v_lshl_or_b32 v13, v13, 16, v19
	v_add_co_ci_u32_e64 v18, s0, 0, v18, s0
	v_or_b32_e32 v19, 0x1000, v0
	v_med3_i32 v11, v11, 0, 13
	v_cmp_ne_u32_e64 s0, 0, v16
	v_add_nc_u32_e32 v12, 0xfffffc10, v12
	v_and_or_b32 v9, 0x1ff, v10, v9
	v_mul_f64 v[5:6], v[5:6], s[4:5]
	v_lshrrev_b32_e32 v20, v11, v19
	v_cndmask_b32_e64 v16, 0, 1, s0
	v_cmp_gt_i32_e64 s0, 31, v17
	v_lshrrev_b32_e32 v21, 8, v10
	v_bfe_u32 v22, v10, 20, 11
	v_lshlrev_b32_e32 v11, v11, v20
	v_lshl_or_b32 v16, v16, 9, 0x7c00
	v_cndmask_b32_e64 v18, 0x7c00, v18, s0
	v_cmp_ne_u32_e64 s0, 0, v9
	v_lshrrev_b32_e32 v10, 16, v10
	v_cndmask_b32_e64 v9, 0, 1, s0
	v_cmp_ne_u32_e64 s0, v11, v19
	v_sub_nc_u32_e32 v19, 0x3f1, v22
	v_and_or_b32 v9, 0xffe, v21, v9
	v_cndmask_b32_e64 v11, 0, 1, s0
	v_cmp_eq_u32_e64 s0, 0x40f, v17
	v_lshl_or_b32 v17, v12, 12, v0
	v_med3_i32 v19, v19, 0, 13
	v_and_or_b32 v5, 0x1ff, v6, v5
	v_or_b32_e32 v11, v20, v11
	v_cndmask_b32_e64 v16, v18, v16, s0
	v_or_b32_e32 v18, 0x1000, v9
	v_cmp_gt_i32_e64 s0, 1, v12
	v_lshrrev_b32_e32 v20, 8, v6
	v_bfe_u32 v21, v6, 20, 11
	v_and_or_b32 v2, 0x8000, v2, v16
	v_cndmask_b32_e64 v11, v17, v11, s0
	v_lshrrev_b32_e32 v17, v19, v18
	v_cmp_ne_u32_e64 s0, 0, v5
	v_sub_nc_u32_e32 v16, 0x3f1, v21
	v_and_b32_e32 v23, 7, v11
	v_lshlrev_b32_e32 v19, v19, v17
	v_cndmask_b32_e64 v5, 0, 1, s0
	v_lshrrev_b32_e32 v11, 2, v11
	v_med3_i32 v16, v16, 0, 13
	v_cmp_lt_i32_e64 s0, 5, v23
	v_cmp_ne_u32_e64 s1, v19, v18
	v_and_or_b32 v5, 0xffe, v20, v5
	v_add_nc_u32_e32 v20, 0xfffffc10, v22
	v_cndmask_b32_e64 v18, 0, 1, s1
	v_cmp_eq_u32_e64 s1, 3, v23
	v_or_b32_e32 v19, 0x1000, v5
	v_lshl_or_b32 v22, v20, 12, v9
	v_or_b32_e32 v17, v17, v18
	s_or_b32 s0, s1, s0
	v_lshrrev_b32_e32 v18, v16, v19
	v_add_co_ci_u32_e64 v11, s0, 0, v11, s0
	v_cmp_gt_i32_e64 s0, 1, v20
	v_lshlrev_b32_e32 v16, v16, v18
	v_cndmask_b32_e64 v17, v22, v17, s0
	v_cmp_ne_u32_e64 s0, 0, v0
	v_cndmask_b32_e64 v0, 0, 1, s0
	v_cmp_ne_u32_e64 s0, v16, v19
	v_add_nc_u32_e32 v19, 0xfffffc10, v21
	v_and_b32_e32 v21, 7, v17
	v_lshl_or_b32 v0, v0, 9, 0x7c00
	v_cndmask_b32_e64 v16, 0, 1, s0
	v_cmp_gt_i32_e64 s0, 31, v12
	v_cmp_gt_i32_e64 s2, 1, v19
	v_cmp_eq_u32_e64 s1, 3, v21
	v_or_b32_e32 v16, v18, v16
	v_lshl_or_b32 v18, v19, 12, v5
	v_cndmask_b32_e64 v11, 0x7c00, v11, s0
	v_cmp_lt_i32_e64 s0, 5, v21
	v_cndmask_b32_e64 v16, v18, v16, s2
	v_cmp_eq_u32_e64 s2, 0x40f, v12
	s_or_b32 s0, s1, s0
	v_and_b32_e32 v12, 7, v16
	v_cndmask_b32_e64 v0, v11, v0, s2
	v_lshrrev_b32_e32 v11, 2, v17
	v_cmp_gt_i32_e64 s2, 31, v20
	v_cmp_eq_u32_e64 s1, 3, v12
	v_and_or_b32 v0, 0x8000, v1, v0
	v_add_co_ci_u32_e64 v11, s0, 0, v11, s0
	v_cmp_ne_u32_e64 s0, 0, v9
	v_and_b32_e32 v1, 0xffff, v2
	v_cndmask_b32_e64 v11, 0x7c00, v11, s2
	v_cndmask_b32_e64 v9, 0, 1, s0
	v_cmp_lt_i32_e64 s0, 5, v12
	v_lshrrev_b32_e32 v12, 2, v16
	v_lshl_or_b32 v9, v9, 9, 0x7c00
	s_or_b32 s0, s1, s0
	v_add_co_ci_u32_e64 v12, s0, 0, v12, s0
	v_cmp_ne_u32_e64 s0, 0, v5
	v_cndmask_b32_e64 v5, 0, 1, s0
	v_cmp_eq_u32_e64 s0, 0x40f, v20
	v_lshl_or_b32 v5, v5, 9, 0x7c00
	v_cndmask_b32_e64 v9, v11, v9, s0
	v_cmp_gt_i32_e64 s0, 31, v19
	v_and_or_b32 v2, 0x8000, v10, v9
	v_cndmask_b32_e64 v11, 0x7c00, v12, s0
	v_cmp_eq_u32_e64 s0, 0x40f, v19
	v_lshrrev_b32_e32 v10, 16, v6
	v_cndmask_b32_e64 v9, v11, v5, s0
	v_add_co_u32 v5, s0, v7, s6
	v_add_co_ci_u32_e64 v6, s0, s7, v8, s0
	v_lshl_or_b32 v11, v0, 16, v1
	v_and_or_b32 v0, 0x8000, v10, v9
	v_and_b32_e32 v1, 0xffff, v2
	v_add_co_u32 v9, s0, v5, s6
	v_add_co_ci_u32_e64 v10, s0, s7, v6, s0
	v_lshl_or_b32 v2, v0, 16, v1
	v_add_co_u32 v0, s0, v9, s6
	v_add_co_ci_u32_e64 v1, s0, s7, v10, s0
	global_store_dword v[3:4], v14, off
	global_store_dword v[7:8], v15, off
	;; [unrolled: 1-line block ×5, first 2 shown]
	s_and_b32 exec_lo, exec_lo, vcc_lo
	s_cbranch_execz .LBB0_33
; %bb.32:
	global_load_dword v4, v77, s[18:19]
	ds_read2st64_b32 v[2:3], v76 offset0:40 offset1:82
	s_waitcnt lgkmcnt(0)
	v_lshrrev_b32_e32 v5, 16, v2
	s_waitcnt vmcnt(0)
	v_mul_f16_sdwa v6, v5, v4 dst_sel:DWORD dst_unused:UNUSED_PAD src0_sel:DWORD src1_sel:WORD_1
	v_mul_f16_sdwa v7, v2, v4 dst_sel:DWORD dst_unused:UNUSED_PAD src0_sel:DWORD src1_sel:WORD_1
	v_fmac_f16_e32 v6, v2, v4
	v_fma_f16 v2, v4, v5, -v7
	v_cvt_f32_f16_e32 v4, v6
	v_cvt_f32_f16_e32 v2, v2
	v_cvt_f64_f32_e32 v[4:5], v4
	v_cvt_f64_f32_e32 v[6:7], v2
	v_mul_f64 v[4:5], v[4:5], s[4:5]
	v_mul_f64 v[6:7], v[6:7], s[4:5]
	v_and_or_b32 v2, 0x1ff, v5, v4
	v_and_or_b32 v6, 0x1ff, v7, v6
	v_lshrrev_b32_e32 v4, 8, v5
	v_bfe_u32 v8, v5, 20, 11
	v_lshrrev_b32_e32 v9, 8, v7
	v_cmp_ne_u32_e32 vcc_lo, 0, v2
	v_bfe_u32 v10, v7, 20, 11
	v_lshrrev_b32_e32 v5, 16, v5
	v_sub_nc_u32_e32 v11, 0x3f1, v8
	v_add_nc_u32_e32 v8, 0xfffffc10, v8
	v_cndmask_b32_e64 v2, 0, 1, vcc_lo
	v_cmp_ne_u32_e32 vcc_lo, 0, v6
	v_lshrrev_b32_e32 v7, 16, v7
	v_and_or_b32 v2, 0xffe, v4, v2
	v_cndmask_b32_e64 v6, 0, 1, vcc_lo
	v_sub_nc_u32_e32 v4, 0x3f1, v10
	v_add_nc_u32_e32 v10, 0xfffffc10, v10
	v_and_or_b32 v6, 0xffe, v9, v6
	v_med3_i32 v9, v11, 0, 13
	v_or_b32_e32 v11, 0x1000, v2
	v_med3_i32 v4, v4, 0, 13
	v_or_b32_e32 v12, 0x1000, v6
	v_lshrrev_b32_e32 v13, v9, v11
	v_lshrrev_b32_e32 v14, v4, v12
	v_lshlrev_b32_e32 v9, v9, v13
	v_lshlrev_b32_e32 v4, v4, v14
	v_cmp_ne_u32_e32 vcc_lo, v9, v11
	v_lshl_or_b32 v11, v8, 12, v2
	v_cndmask_b32_e64 v9, 0, 1, vcc_lo
	v_cmp_ne_u32_e32 vcc_lo, v4, v12
	v_lshl_or_b32 v12, v10, 12, v6
	v_or_b32_e32 v9, v13, v9
	v_cndmask_b32_e64 v4, 0, 1, vcc_lo
	v_cmp_gt_i32_e32 vcc_lo, 1, v8
	v_or_b32_e32 v4, v14, v4
	v_cndmask_b32_e32 v9, v11, v9, vcc_lo
	v_cmp_gt_i32_e32 vcc_lo, 1, v10
	v_and_b32_e32 v11, 7, v9
	v_cndmask_b32_e32 v4, v12, v4, vcc_lo
	v_cmp_ne_u32_e32 vcc_lo, 0, v2
	v_lshrrev_b32_e32 v9, 2, v9
	v_cmp_eq_u32_e64 s0, 3, v11
	v_and_b32_e32 v12, 7, v4
	v_cndmask_b32_e64 v2, 0, 1, vcc_lo
	v_cmp_ne_u32_e32 vcc_lo, 0, v6
	v_lshrrev_b32_e32 v4, 2, v4
	v_cmp_lt_i32_e64 s1, 5, v12
	v_cmp_eq_u32_e64 s2, 3, v12
	v_cndmask_b32_e64 v6, 0, 1, vcc_lo
	v_cmp_lt_i32_e32 vcc_lo, 5, v11
	v_lshl_or_b32 v2, v2, 9, 0x7c00
	v_lshl_or_b32 v6, v6, 9, 0x7c00
	s_or_b32 vcc_lo, s0, vcc_lo
	v_add_co_ci_u32_e32 v9, vcc_lo, 0, v9, vcc_lo
	s_or_b32 vcc_lo, s2, s1
	v_add_co_ci_u32_e32 v4, vcc_lo, 0, v4, vcc_lo
	v_cmp_gt_i32_e32 vcc_lo, 31, v8
	v_cndmask_b32_e32 v9, 0x7c00, v9, vcc_lo
	v_cmp_gt_i32_e32 vcc_lo, 31, v10
	v_cndmask_b32_e32 v4, 0x7c00, v4, vcc_lo
	v_cmp_eq_u32_e32 vcc_lo, 0x40f, v8
	v_cndmask_b32_e32 v2, v9, v2, vcc_lo
	v_cmp_eq_u32_e32 vcc_lo, 0x40f, v10
	v_and_or_b32 v2, 0x8000, v5, v2
	v_cndmask_b32_e32 v4, v4, v6, vcc_lo
	v_add_co_u32 v0, vcc_lo, v0, s8
	v_add_co_ci_u32_e32 v1, vcc_lo, s9, v1, vcc_lo
	v_and_or_b32 v4, 0x8000, v7, v4
	v_and_b32_e32 v2, 0xffff, v2
	v_lshl_or_b32 v2, v4, 16, v2
	v_lshrrev_b32_e32 v4, 16, v3
	global_store_dword v[0:1], v2, off
	global_load_dword v2, v[33:34], off offset:512
	s_waitcnt vmcnt(0)
	v_mul_f16_sdwa v5, v4, v2 dst_sel:DWORD dst_unused:UNUSED_PAD src0_sel:DWORD src1_sel:WORD_1
	v_mul_f16_sdwa v6, v3, v2 dst_sel:DWORD dst_unused:UNUSED_PAD src0_sel:DWORD src1_sel:WORD_1
	v_fmac_f16_e32 v5, v3, v2
	v_fma_f16 v2, v2, v4, -v6
	v_cvt_f32_f16_e32 v3, v5
	v_cvt_f32_f16_e32 v4, v2
	v_cvt_f64_f32_e32 v[2:3], v3
	v_cvt_f64_f32_e32 v[4:5], v4
	v_mul_f64 v[2:3], v[2:3], s[4:5]
	v_mul_f64 v[4:5], v[4:5], s[4:5]
	v_and_or_b32 v2, 0x1ff, v3, v2
	v_and_or_b32 v4, 0x1ff, v5, v4
	v_lshrrev_b32_e32 v6, 8, v3
	v_bfe_u32 v7, v3, 20, 11
	v_lshrrev_b32_e32 v8, 8, v5
	v_cmp_ne_u32_e32 vcc_lo, 0, v2
	v_bfe_u32 v9, v5, 20, 11
	v_lshrrev_b32_e32 v3, 16, v3
	v_sub_nc_u32_e32 v10, 0x3f1, v7
	v_add_nc_u32_e32 v7, 0xfffffc10, v7
	v_cndmask_b32_e64 v2, 0, 1, vcc_lo
	v_cmp_ne_u32_e32 vcc_lo, 0, v4
	v_lshrrev_b32_e32 v5, 16, v5
	v_and_or_b32 v2, 0xffe, v6, v2
	v_cndmask_b32_e64 v4, 0, 1, vcc_lo
	v_sub_nc_u32_e32 v6, 0x3f1, v9
	v_add_nc_u32_e32 v9, 0xfffffc10, v9
	v_and_or_b32 v4, 0xffe, v8, v4
	v_med3_i32 v8, v10, 0, 13
	v_or_b32_e32 v10, 0x1000, v2
	v_med3_i32 v6, v6, 0, 13
	v_or_b32_e32 v11, 0x1000, v4
	v_lshrrev_b32_e32 v12, v8, v10
	v_lshrrev_b32_e32 v13, v6, v11
	v_lshlrev_b32_e32 v8, v8, v12
	v_lshlrev_b32_e32 v6, v6, v13
	v_cmp_ne_u32_e32 vcc_lo, v8, v10
	v_lshl_or_b32 v10, v7, 12, v2
	v_cndmask_b32_e64 v8, 0, 1, vcc_lo
	v_cmp_ne_u32_e32 vcc_lo, v6, v11
	v_lshl_or_b32 v11, v9, 12, v4
	v_or_b32_e32 v8, v12, v8
	v_cndmask_b32_e64 v6, 0, 1, vcc_lo
	v_cmp_gt_i32_e32 vcc_lo, 1, v7
	v_or_b32_e32 v6, v13, v6
	v_cndmask_b32_e32 v8, v10, v8, vcc_lo
	v_cmp_gt_i32_e32 vcc_lo, 1, v9
	v_and_b32_e32 v10, 7, v8
	v_cndmask_b32_e32 v6, v11, v6, vcc_lo
	v_cmp_ne_u32_e32 vcc_lo, 0, v2
	v_lshrrev_b32_e32 v8, 2, v8
	v_cmp_eq_u32_e64 s0, 3, v10
	v_and_b32_e32 v11, 7, v6
	v_cndmask_b32_e64 v2, 0, 1, vcc_lo
	v_cmp_ne_u32_e32 vcc_lo, 0, v4
	v_lshrrev_b32_e32 v6, 2, v6
	v_cmp_lt_i32_e64 s1, 5, v11
	v_cmp_eq_u32_e64 s2, 3, v11
	v_cndmask_b32_e64 v4, 0, 1, vcc_lo
	v_cmp_lt_i32_e32 vcc_lo, 5, v10
	v_lshl_or_b32 v2, v2, 9, 0x7c00
	v_lshl_or_b32 v4, v4, 9, 0x7c00
	s_or_b32 vcc_lo, s0, vcc_lo
	v_add_co_ci_u32_e32 v8, vcc_lo, 0, v8, vcc_lo
	s_or_b32 vcc_lo, s2, s1
	v_add_co_ci_u32_e32 v6, vcc_lo, 0, v6, vcc_lo
	v_cmp_gt_i32_e32 vcc_lo, 31, v7
	v_cndmask_b32_e32 v8, 0x7c00, v8, vcc_lo
	v_cmp_gt_i32_e32 vcc_lo, 31, v9
	v_cndmask_b32_e32 v6, 0x7c00, v6, vcc_lo
	v_cmp_eq_u32_e32 vcc_lo, 0x40f, v7
	v_cndmask_b32_e32 v2, v8, v2, vcc_lo
	v_cmp_eq_u32_e32 vcc_lo, 0x40f, v9
	v_and_or_b32 v2, 0x8000, v3, v2
	v_cndmask_b32_e32 v4, v6, v4, vcc_lo
	v_add_co_u32 v0, vcc_lo, v0, s6
	v_add_co_ci_u32_e32 v1, vcc_lo, s7, v1, vcc_lo
	v_and_or_b32 v3, 0x8000, v5, v4
	v_and_b32_e32 v2, 0xffff, v2
	v_lshl_or_b32 v2, v3, 16, v2
	global_store_dword v[0:1], v2, off
	global_load_dword v4, v[31:32], off offset:1024
	ds_read2st64_b32 v[2:3], v76 offset0:124 offset1:166
	s_waitcnt lgkmcnt(0)
	v_lshrrev_b32_e32 v5, 16, v2
	s_waitcnt vmcnt(0)
	v_mul_f16_sdwa v6, v5, v4 dst_sel:DWORD dst_unused:UNUSED_PAD src0_sel:DWORD src1_sel:WORD_1
	v_mul_f16_sdwa v7, v2, v4 dst_sel:DWORD dst_unused:UNUSED_PAD src0_sel:DWORD src1_sel:WORD_1
	v_fmac_f16_e32 v6, v2, v4
	v_fma_f16 v2, v4, v5, -v7
	v_cvt_f32_f16_e32 v4, v6
	v_cvt_f32_f16_e32 v2, v2
	v_cvt_f64_f32_e32 v[4:5], v4
	v_cvt_f64_f32_e32 v[6:7], v2
	v_mul_f64 v[4:5], v[4:5], s[4:5]
	v_mul_f64 v[6:7], v[6:7], s[4:5]
	v_and_or_b32 v2, 0x1ff, v5, v4
	v_and_or_b32 v6, 0x1ff, v7, v6
	v_lshrrev_b32_e32 v4, 8, v5
	v_bfe_u32 v8, v5, 20, 11
	v_lshrrev_b32_e32 v9, 8, v7
	v_cmp_ne_u32_e32 vcc_lo, 0, v2
	v_bfe_u32 v10, v7, 20, 11
	v_lshrrev_b32_e32 v5, 16, v5
	v_sub_nc_u32_e32 v11, 0x3f1, v8
	v_add_nc_u32_e32 v8, 0xfffffc10, v8
	v_cndmask_b32_e64 v2, 0, 1, vcc_lo
	v_cmp_ne_u32_e32 vcc_lo, 0, v6
	v_lshrrev_b32_e32 v7, 16, v7
	v_and_or_b32 v2, 0xffe, v4, v2
	v_cndmask_b32_e64 v6, 0, 1, vcc_lo
	v_sub_nc_u32_e32 v4, 0x3f1, v10
	v_add_nc_u32_e32 v10, 0xfffffc10, v10
	v_and_or_b32 v6, 0xffe, v9, v6
	v_med3_i32 v9, v11, 0, 13
	v_or_b32_e32 v11, 0x1000, v2
	v_med3_i32 v4, v4, 0, 13
	v_or_b32_e32 v12, 0x1000, v6
	v_lshrrev_b32_e32 v13, v9, v11
	v_lshrrev_b32_e32 v14, v4, v12
	v_lshlrev_b32_e32 v9, v9, v13
	v_lshlrev_b32_e32 v4, v4, v14
	v_cmp_ne_u32_e32 vcc_lo, v9, v11
	v_lshl_or_b32 v11, v8, 12, v2
	v_cndmask_b32_e64 v9, 0, 1, vcc_lo
	v_cmp_ne_u32_e32 vcc_lo, v4, v12
	v_lshl_or_b32 v12, v10, 12, v6
	v_or_b32_e32 v9, v13, v9
	v_cndmask_b32_e64 v4, 0, 1, vcc_lo
	v_cmp_gt_i32_e32 vcc_lo, 1, v8
	v_or_b32_e32 v4, v14, v4
	v_cndmask_b32_e32 v9, v11, v9, vcc_lo
	v_cmp_gt_i32_e32 vcc_lo, 1, v10
	v_and_b32_e32 v11, 7, v9
	v_cndmask_b32_e32 v4, v12, v4, vcc_lo
	v_cmp_ne_u32_e32 vcc_lo, 0, v2
	v_lshrrev_b32_e32 v9, 2, v9
	v_cmp_eq_u32_e64 s0, 3, v11
	v_and_b32_e32 v12, 7, v4
	v_cndmask_b32_e64 v2, 0, 1, vcc_lo
	v_cmp_ne_u32_e32 vcc_lo, 0, v6
	v_lshrrev_b32_e32 v4, 2, v4
	v_cmp_lt_i32_e64 s1, 5, v12
	v_cmp_eq_u32_e64 s2, 3, v12
	v_cndmask_b32_e64 v6, 0, 1, vcc_lo
	v_cmp_lt_i32_e32 vcc_lo, 5, v11
	v_lshl_or_b32 v2, v2, 9, 0x7c00
	v_lshl_or_b32 v6, v6, 9, 0x7c00
	s_or_b32 vcc_lo, s0, vcc_lo
	v_add_co_ci_u32_e32 v9, vcc_lo, 0, v9, vcc_lo
	s_or_b32 vcc_lo, s2, s1
	v_add_co_ci_u32_e32 v4, vcc_lo, 0, v4, vcc_lo
	v_cmp_gt_i32_e32 vcc_lo, 31, v8
	v_cndmask_b32_e32 v9, 0x7c00, v9, vcc_lo
	v_cmp_gt_i32_e32 vcc_lo, 31, v10
	v_cndmask_b32_e32 v4, 0x7c00, v4, vcc_lo
	v_cmp_eq_u32_e32 vcc_lo, 0x40f, v8
	v_cndmask_b32_e32 v2, v9, v2, vcc_lo
	v_cmp_eq_u32_e32 vcc_lo, 0x40f, v10
	v_and_or_b32 v2, 0x8000, v5, v2
	v_cndmask_b32_e32 v4, v4, v6, vcc_lo
	v_add_co_u32 v0, vcc_lo, v0, s6
	v_add_co_ci_u32_e32 v1, vcc_lo, s7, v1, vcc_lo
	v_and_or_b32 v4, 0x8000, v7, v4
	v_and_b32_e32 v2, 0xffff, v2
	v_lshl_or_b32 v2, v4, 16, v2
	v_add_co_u32 v4, vcc_lo, 0xa000, v74
	v_add_co_ci_u32_e32 v5, vcc_lo, 0, v75, vcc_lo
	global_store_dword v[0:1], v2, off
	global_load_dword v2, v[4:5], off offset:1536
	v_lshrrev_b32_e32 v4, 16, v3
	s_waitcnt vmcnt(0)
	v_mul_f16_sdwa v5, v4, v2 dst_sel:DWORD dst_unused:UNUSED_PAD src0_sel:DWORD src1_sel:WORD_1
	v_mul_f16_sdwa v6, v3, v2 dst_sel:DWORD dst_unused:UNUSED_PAD src0_sel:DWORD src1_sel:WORD_1
	v_fmac_f16_e32 v5, v3, v2
	v_fma_f16 v2, v2, v4, -v6
	v_cvt_f32_f16_e32 v3, v5
	v_cvt_f32_f16_e32 v4, v2
	v_cvt_f64_f32_e32 v[2:3], v3
	v_cvt_f64_f32_e32 v[4:5], v4
	v_mul_f64 v[2:3], v[2:3], s[4:5]
	v_mul_f64 v[4:5], v[4:5], s[4:5]
	v_and_or_b32 v2, 0x1ff, v3, v2
	v_and_or_b32 v4, 0x1ff, v5, v4
	v_lshrrev_b32_e32 v6, 8, v3
	v_bfe_u32 v7, v3, 20, 11
	v_lshrrev_b32_e32 v8, 8, v5
	v_cmp_ne_u32_e32 vcc_lo, 0, v2
	v_bfe_u32 v9, v5, 20, 11
	v_lshrrev_b32_e32 v3, 16, v3
	v_sub_nc_u32_e32 v10, 0x3f1, v7
	v_add_nc_u32_e32 v7, 0xfffffc10, v7
	v_cndmask_b32_e64 v2, 0, 1, vcc_lo
	v_cmp_ne_u32_e32 vcc_lo, 0, v4
	v_lshrrev_b32_e32 v5, 16, v5
	v_and_or_b32 v2, 0xffe, v6, v2
	v_cndmask_b32_e64 v4, 0, 1, vcc_lo
	v_sub_nc_u32_e32 v6, 0x3f1, v9
	v_add_nc_u32_e32 v9, 0xfffffc10, v9
	v_and_or_b32 v4, 0xffe, v8, v4
	v_med3_i32 v8, v10, 0, 13
	v_or_b32_e32 v10, 0x1000, v2
	v_med3_i32 v6, v6, 0, 13
	v_or_b32_e32 v11, 0x1000, v4
	v_lshrrev_b32_e32 v12, v8, v10
	v_lshrrev_b32_e32 v13, v6, v11
	v_lshlrev_b32_e32 v8, v8, v12
	v_lshlrev_b32_e32 v6, v6, v13
	v_cmp_ne_u32_e32 vcc_lo, v8, v10
	v_lshl_or_b32 v10, v7, 12, v2
	v_cndmask_b32_e64 v8, 0, 1, vcc_lo
	v_cmp_ne_u32_e32 vcc_lo, v6, v11
	v_lshl_or_b32 v11, v9, 12, v4
	v_or_b32_e32 v8, v12, v8
	v_cndmask_b32_e64 v6, 0, 1, vcc_lo
	v_cmp_gt_i32_e32 vcc_lo, 1, v7
	v_or_b32_e32 v6, v13, v6
	v_cndmask_b32_e32 v8, v10, v8, vcc_lo
	v_cmp_gt_i32_e32 vcc_lo, 1, v9
	v_and_b32_e32 v10, 7, v8
	v_cndmask_b32_e32 v6, v11, v6, vcc_lo
	v_cmp_ne_u32_e32 vcc_lo, 0, v2
	v_lshrrev_b32_e32 v8, 2, v8
	v_cmp_eq_u32_e64 s0, 3, v10
	v_and_b32_e32 v11, 7, v6
	v_cndmask_b32_e64 v2, 0, 1, vcc_lo
	v_cmp_ne_u32_e32 vcc_lo, 0, v4
	v_lshrrev_b32_e32 v6, 2, v6
	v_cmp_lt_i32_e64 s1, 5, v11
	v_cmp_eq_u32_e64 s2, 3, v11
	v_cndmask_b32_e64 v4, 0, 1, vcc_lo
	v_cmp_lt_i32_e32 vcc_lo, 5, v10
	v_lshl_or_b32 v2, v2, 9, 0x7c00
	v_lshl_or_b32 v4, v4, 9, 0x7c00
	s_or_b32 vcc_lo, s0, vcc_lo
	v_add_co_ci_u32_e32 v8, vcc_lo, 0, v8, vcc_lo
	s_or_b32 vcc_lo, s2, s1
	v_add_co_ci_u32_e32 v6, vcc_lo, 0, v6, vcc_lo
	v_cmp_gt_i32_e32 vcc_lo, 31, v7
	v_cndmask_b32_e32 v8, 0x7c00, v8, vcc_lo
	v_cmp_gt_i32_e32 vcc_lo, 31, v9
	v_cndmask_b32_e32 v6, 0x7c00, v6, vcc_lo
	v_cmp_eq_u32_e32 vcc_lo, 0x40f, v7
	v_cndmask_b32_e32 v2, v8, v2, vcc_lo
	v_cmp_eq_u32_e32 vcc_lo, 0x40f, v9
	v_and_or_b32 v2, 0x8000, v3, v2
	v_cndmask_b32_e32 v4, v6, v4, vcc_lo
	v_add_co_u32 v0, vcc_lo, v0, s6
	v_add_co_ci_u32_e32 v1, vcc_lo, s7, v1, vcc_lo
	v_and_or_b32 v3, 0x8000, v5, v4
	v_and_b32_e32 v2, 0xffff, v2
	v_lshl_or_b32 v2, v3, 16, v2
	global_store_dword v[0:1], v2, off
.LBB0_33:
	s_endpgm
	.section	.rodata,"a",@progbits
	.p2align	6, 0x0
	.amdhsa_kernel bluestein_single_back_len10752_dim1_half_op_CI_CI
		.amdhsa_group_segment_fixed_size 43008
		.amdhsa_private_segment_fixed_size 0
		.amdhsa_kernarg_size 104
		.amdhsa_user_sgpr_count 6
		.amdhsa_user_sgpr_private_segment_buffer 1
		.amdhsa_user_sgpr_dispatch_ptr 0
		.amdhsa_user_sgpr_queue_ptr 0
		.amdhsa_user_sgpr_kernarg_segment_ptr 1
		.amdhsa_user_sgpr_dispatch_id 0
		.amdhsa_user_sgpr_flat_scratch_init 0
		.amdhsa_user_sgpr_private_segment_size 0
		.amdhsa_wavefront_size32 1
		.amdhsa_uses_dynamic_stack 0
		.amdhsa_system_sgpr_private_segment_wavefront_offset 0
		.amdhsa_system_sgpr_workgroup_id_x 1
		.amdhsa_system_sgpr_workgroup_id_y 0
		.amdhsa_system_sgpr_workgroup_id_z 0
		.amdhsa_system_sgpr_workgroup_info 0
		.amdhsa_system_vgpr_workitem_id 0
		.amdhsa_next_free_vgpr 214
		.amdhsa_next_free_sgpr 28
		.amdhsa_reserve_vcc 1
		.amdhsa_reserve_flat_scratch 0
		.amdhsa_float_round_mode_32 0
		.amdhsa_float_round_mode_16_64 0
		.amdhsa_float_denorm_mode_32 3
		.amdhsa_float_denorm_mode_16_64 3
		.amdhsa_dx10_clamp 1
		.amdhsa_ieee_mode 1
		.amdhsa_fp16_overflow 0
		.amdhsa_workgroup_processor_mode 1
		.amdhsa_memory_ordered 1
		.amdhsa_forward_progress 0
		.amdhsa_shared_vgpr_count 0
		.amdhsa_exception_fp_ieee_invalid_op 0
		.amdhsa_exception_fp_denorm_src 0
		.amdhsa_exception_fp_ieee_div_zero 0
		.amdhsa_exception_fp_ieee_overflow 0
		.amdhsa_exception_fp_ieee_underflow 0
		.amdhsa_exception_fp_ieee_inexact 0
		.amdhsa_exception_int_div_zero 0
	.end_amdhsa_kernel
	.text
.Lfunc_end0:
	.size	bluestein_single_back_len10752_dim1_half_op_CI_CI, .Lfunc_end0-bluestein_single_back_len10752_dim1_half_op_CI_CI
                                        ; -- End function
	.section	.AMDGPU.csdata,"",@progbits
; Kernel info:
; codeLenInByte = 41204
; NumSgprs: 30
; NumVgprs: 214
; ScratchSize: 0
; MemoryBound: 0
; FloatMode: 240
; IeeeMode: 1
; LDSByteSize: 43008 bytes/workgroup (compile time only)
; SGPRBlocks: 3
; VGPRBlocks: 26
; NumSGPRsForWavesPerEU: 30
; NumVGPRsForWavesPerEU: 214
; Occupancy: 4
; WaveLimiterHint : 1
; COMPUTE_PGM_RSRC2:SCRATCH_EN: 0
; COMPUTE_PGM_RSRC2:USER_SGPR: 6
; COMPUTE_PGM_RSRC2:TRAP_HANDLER: 0
; COMPUTE_PGM_RSRC2:TGID_X_EN: 1
; COMPUTE_PGM_RSRC2:TGID_Y_EN: 0
; COMPUTE_PGM_RSRC2:TGID_Z_EN: 0
; COMPUTE_PGM_RSRC2:TIDIG_COMP_CNT: 0
	.text
	.p2alignl 6, 3214868480
	.fill 48, 4, 3214868480
	.type	__hip_cuid_367bfa85c28cc9a4,@object ; @__hip_cuid_367bfa85c28cc9a4
	.section	.bss,"aw",@nobits
	.globl	__hip_cuid_367bfa85c28cc9a4
__hip_cuid_367bfa85c28cc9a4:
	.byte	0                               ; 0x0
	.size	__hip_cuid_367bfa85c28cc9a4, 1

	.ident	"AMD clang version 19.0.0git (https://github.com/RadeonOpenCompute/llvm-project roc-6.4.0 25133 c7fe45cf4b819c5991fe208aaa96edf142730f1d)"
	.section	".note.GNU-stack","",@progbits
	.addrsig
	.addrsig_sym __hip_cuid_367bfa85c28cc9a4
	.amdgpu_metadata
---
amdhsa.kernels:
  - .args:
      - .actual_access:  read_only
        .address_space:  global
        .offset:         0
        .size:           8
        .value_kind:     global_buffer
      - .actual_access:  read_only
        .address_space:  global
        .offset:         8
        .size:           8
        .value_kind:     global_buffer
      - .actual_access:  read_only
        .address_space:  global
        .offset:         16
        .size:           8
        .value_kind:     global_buffer
      - .actual_access:  read_only
        .address_space:  global
        .offset:         24
        .size:           8
        .value_kind:     global_buffer
      - .actual_access:  read_only
        .address_space:  global
        .offset:         32
        .size:           8
        .value_kind:     global_buffer
      - .offset:         40
        .size:           8
        .value_kind:     by_value
      - .address_space:  global
        .offset:         48
        .size:           8
        .value_kind:     global_buffer
      - .address_space:  global
        .offset:         56
        .size:           8
        .value_kind:     global_buffer
      - .address_space:  global
        .offset:         64
        .size:           8
        .value_kind:     global_buffer
      - .address_space:  global
        .offset:         72
        .size:           8
        .value_kind:     global_buffer
      - .offset:         80
        .size:           4
        .value_kind:     by_value
      - .address_space:  global
        .offset:         88
        .size:           8
        .value_kind:     global_buffer
      - .address_space:  global
        .offset:         96
        .size:           8
        .value_kind:     global_buffer
    .group_segment_fixed_size: 43008
    .kernarg_segment_align: 8
    .kernarg_segment_size: 104
    .language:       OpenCL C
    .language_version:
      - 2
      - 0
    .max_flat_workgroup_size: 512
    .name:           bluestein_single_back_len10752_dim1_half_op_CI_CI
    .private_segment_fixed_size: 0
    .sgpr_count:     30
    .sgpr_spill_count: 0
    .symbol:         bluestein_single_back_len10752_dim1_half_op_CI_CI.kd
    .uniform_work_group_size: 1
    .uses_dynamic_stack: false
    .vgpr_count:     214
    .vgpr_spill_count: 0
    .wavefront_size: 32
    .workgroup_processor_mode: 1
amdhsa.target:   amdgcn-amd-amdhsa--gfx1030
amdhsa.version:
  - 1
  - 2
...

	.end_amdgpu_metadata
